;; amdgpu-corpus repo=ROCm/aiter kind=harvested arch=n/a opt=n/a

/root/src/amdgpu-assembly/repos/ROCm__aiter/hsa/gfx950/fmoe_2stages/fmoe_stage1_bf16_pertokenInt8_g1u1_96x128_pf2.co:	file format elf64-amdgpu

Disassembly of section .text:

0000000000002a00 <_ZN5aiter45fmoe_stage1_bf16_pertokenInt8_g1u1_96x128_pf2E>:
	s_and_b32 s1, s1, 0xffff                                   // 000000002A00: 8601FF01 0000FFFF
	s_load_dwordx2 s[8:9], s[0:1], 0x0                         // 000000002A08: C0060200 00000000
	s_load_dwordx2 s[20:21], s[0:1], 0x10                      // 000000002A10: C0060500 00000010
	s_load_dwordx2 s[24:25], s[0:1], 0x20                      // 000000002A18: C0060600 00000020
	s_load_dwordx2 s[48:49], s[0:1], 0x30                      // 000000002A20: C0060C00 00000030
	s_load_dwordx2 s[28:29], s[0:1], 0x40                      // 000000002A28: C0060700 00000040
	s_load_dwordx2 s[32:33], s[0:1], 0x50                      // 000000002A30: C0060800 00000050
	s_load_dwordx2 s[36:37], s[0:1], 0x60                      // 000000002A38: C0060900 00000060
	s_load_dwordx2 s[12:13], s[0:1], 0x70                      // 000000002A40: C0060300 00000070
	s_load_dwordx2 s[44:45], s[0:1], 0x80                      // 000000002A48: C0060B00 00000080
	s_mov_b32 s89, 0                                           // 000000002A50: BED90080
	s_load_dword s64, s[0:1], 0x90                             // 000000002A54: C0021000 00000090
	s_load_dword s65, s[0:1], 0xa0                             // 000000002A5C: C0021040 000000A0
	s_load_dword s66, s[0:1], 0xb0                             // 000000002A64: C0021080 000000B0
	s_load_dword s67, s[0:1], 0xc0                             // 000000002A6C: C00210C0 000000C0
	s_load_dword s68, s[0:1], 0xd0                             // 000000002A74: C0021100 000000D0
	s_load_dword s69, s[0:1], 0xe0                             // 000000002A7C: C0021140 000000E0
	s_load_dword s71, s[0:1], 0xf0                             // 000000002A84: C00211C0 000000F0
	s_load_dword s72, s[0:1], 0x100                            // 000000002A8C: C0021200 00000100
	s_load_dword s74, s[0:1], 0x110                            // 000000002A94: C0021280 00000110
	s_load_dword s76, s[0:1], 0x120                            // 000000002A9C: C0021300 00000120
	s_load_dword s56, s[0:1], 0x130                            // 000000002AA4: C0020E00 00000130
	s_load_dword s88, s[0:1], 0x140                            // 000000002AAC: C0021600 00000140
	s_load_dword s89, s[0:1], 0x150                            // 000000002AB4: C0021640 00000150
	v_lshrrev_b32_e32 v1, 10, v0                               // 000000002ABC: 2002008A
	v_lshrrev_b32_e32 v2, 10, v1                               // 000000002AC0: 2004028A
	v_and_b32_e32 v2, 0x3ff, v2                                // 000000002AC4: 260404FF 000003FF
	v_and_b32_e32 v1, 0x3ff, v1                                // 000000002ACC: 260202FF 000003FF
	v_and_b32_e32 v0, 0x3ff, v0                                // 000000002AD4: 260000FF 000003FF
	v_lshrrev_b32_e32 v3, 6, v0                                // 000000002ADC: 20060086
	v_and_b32_e32 v0, 63, v0                                   // 000000002AE0: 260000BF
	s_mov_b32 s2, s2                                           // 000000002AE4: BE820002
	s_mov_b32 s3, s3                                           // 000000002AE8: BE830003
	s_mov_b32 s4, s4                                           // 000000002AEC: BE840004
	v_readfirstlane_b32 s7, v3                                 // 000000002AF0: 7E0E0503
	s_waitcnt lgkmcnt(0)                                       // 000000002AF4: BF8CC07F
	s_and_b32 s49, s49, 0xffff                                 // 000000002AF8: 8631FF31 0000FFFF
	s_load_dword s48, s[48:49], 0x0                            // 000000002B00: C0020C18 00000000
	s_and_b32 s45, s45, 0xffff                                 // 000000002B08: 862DFF2D 0000FFFF
	s_and_b32 s9, s9, 0xffff                                   // 000000002B10: 8609FF09 0000FFFF
	s_mul_i32 s60, s66, s68                                    // 000000002B18: 923C4442
	s_mul_i32 s61, s66, 4                                      // 000000002B1C: 923D8442
	s_mov_b32 s22, s60                                         // 000000002B20: BE96003C
	s_mov_b32 s26, -16                                         // 000000002B24: BE9A00D0
	s_mov_b32 s30, s61                                         // 000000002B28: BE9E003D
	s_mov_b32 s14, 0x180                                       // 000000002B2C: BE8E00FF 00000180
	s_mov_b32 s38, -16                                         // 000000002B34: BEA600D0
	s_mov_b32 s10, -16                                         // 000000002B38: BE8A00D0
	s_mov_b32 s34, 0x200                                       // 000000002B3C: BEA200FF 00000200
	s_mov_b32 s23, 0x20000                                     // 000000002B44: BE9700FF 00020000
	s_mov_b32 s27, 0x20000                                     // 000000002B4C: BE9B00FF 00020000
	s_mov_b32 s31, 0x20000                                     // 000000002B54: BE9F00FF 00020000
	s_mov_b32 s35, 0x20000                                     // 000000002B5C: BEA300FF 00020000
	s_mov_b32 s15, 0x20000                                     // 000000002B64: BE8F00FF 00020000
	s_mov_b32 s39, 0x20000                                     // 000000002B6C: BEA700FF 00020000
	s_mov_b32 s11, 0x20000                                     // 000000002B74: BE8B00FF 00020000
	s_and_b32 s21, s21, 0xffff                                 // 000000002B7C: 8615FF15 0000FFFF
	s_and_b32 s25, s25, 0xffff                                 // 000000002B84: 8619FF19 0000FFFF
	s_and_b32 s29, s29, 0xffff                                 // 000000002B8C: 861DFF1D 0000FFFF
	s_and_b32 s33, s33, 0xffff                                 // 000000002B94: 8621FF21 0000FFFF
	s_and_b32 s13, s13, 0xffff                                 // 000000002B9C: 860DFF0D 0000FFFF
	s_and_b32 s37, s37, 0xffff                                 // 000000002BA4: 8625FF25 0000FFFF
	s_or_b32 s21, s21, 0x40000                                 // 000000002BAC: 8715FF15 00040000
	s_or_b32 s25, s25, 0x40000                                 // 000000002BB4: 8719FF19 00040000
	s_or_b32 s29, s29, 0x40000                                 // 000000002BBC: 871DFF1D 00040000
	s_or_b32 s33, s33, 0x40000                                 // 000000002BC4: 8721FF21 00040000
	s_or_b32 s13, s13, 0x40000                                 // 000000002BCC: 870DFF0D 00040000
	s_or_b32 s37, s37, 0x40000                                 // 000000002BD4: 8725FF25 00040000
	v_accvgpr_write_b32 a127, 0                                // 000000002BDC: D3D9407F 18000080
	v_mov_b32_e32 v163, 0                                      // 000000002BE4: 7F460280
	s_waitcnt lgkmcnt(0)                                       // 000000002BE8: BF8CC07F
	s_mul_i32 s60, s3, 0x60                                    // 000000002BEC: 923CFF03 00000060
	s_cmp_lt_i32 s60, s48                                      // 000000002BF4: BF04303C
	s_cbranch_scc0 label_251E                                  // 000000002BF8: BF84249C
	s_mov_b32 s80, 0                                           // 000000002BFC: BED00080
	s_lshr_b32 s81, s64, s88                                   // 000000002C00: 8F515840
	s_mul_i32 s60, s3, 4                                       // 000000002C04: 923C8403
	s_add_u32 s44, s60, s44                                    // 000000002C08: 802C2C3C
	s_addc_u32 s45, 0, s45                                     // 000000002C0C: 822D2D80
	s_load_dword s5, s[44:45], 0x0                             // 000000002C10: C0020156 00000000
	s_mul_i32 s60, s3, 0x60                                    // 000000002C18: 923CFF03 00000060
	s_mul_i32 s60, 4, s60                                      // 000000002C20: 923C3C84
	s_add_u32 s12, s60, s12                                    // 000000002C24: 800C0C3C
	s_addc_u32 s13, 0, s13                                     // 000000002C28: 820D0D80
	v_and_b32_e32 v4, 15, v0                                   // 000000002C2C: 2608008F
	v_lshlrev_b32_e32 v4, 2, v4                                // 000000002C30: 24080882
	buffer_load_dword v28, v4, s[12:15], 0 offen               // 000000002C34: E0501000 80031C04
	v_add_u32_e32 v4, 64, v4                                   // 000000002C3C: 680808C0
	buffer_load_dword v29, v4, s[12:15], 0 offen               // 000000002C40: E0501000 80031D04
	v_add_u32_e32 v4, 64, v4                                   // 000000002C48: 680808C0
	buffer_load_dword v30, v4, s[12:15], 0 offen               // 000000002C4C: E0501000 80031E04
	v_add_u32_e32 v4, 64, v4                                   // 000000002C54: 680808C0
	buffer_load_dword v31, v4, s[12:15], 0 offen               // 000000002C58: E0501000 80031F04
	v_add_u32_e32 v4, 64, v4                                   // 000000002C60: 680808C0
	buffer_load_dword v32, v4, s[12:15], 0 offen               // 000000002C64: E0501000 80032004
	v_add_u32_e32 v4, 64, v4                                   // 000000002C6C: 680808C0
	buffer_load_dword v33, v4, s[12:15], 0 offen               // 000000002C70: E0501000 80032104
	v_add_u32_e32 v4, 64, v4                                   // 000000002C78: 680808C0
	s_mul_i32 s60, 4, s7                                       // 000000002C7C: 923C0784
	v_lshlrev_b32_e32 v4, 4, v0                                // 000000002C80: 24080084
	v_add_u32_e32 v4, s60, v4                                  // 000000002C84: 6808083C
	buffer_load_dword v3, v4, s[12:15], 0 offen                // 000000002C88: E0501000 80030304
	v_mov_b32_e32 v68, 0                                       // 000000002C90: 7E880280
	v_mov_b32_e32 v116, 0                                      // 000000002C94: 7EE80280
	v_mov_b32_e32 v69, 0                                       // 000000002C98: 7E8A0280
	v_mov_b32_e32 v117, 0                                      // 000000002C9C: 7EEA0280
	v_mov_b32_e32 v70, 0                                       // 000000002CA0: 7E8C0280
	v_mov_b32_e32 v118, 0                                      // 000000002CA4: 7EEC0280
	v_mov_b32_e32 v71, 0                                       // 000000002CA8: 7E8E0280
	v_mov_b32_e32 v119, 0                                      // 000000002CAC: 7EEE0280
	v_mov_b32_e32 v72, 0                                       // 000000002CB0: 7E900280
	v_mov_b32_e32 v120, 0                                      // 000000002CB4: 7EF00280
	v_mov_b32_e32 v73, 0                                       // 000000002CB8: 7E920280
	v_mov_b32_e32 v121, 0                                      // 000000002CBC: 7EF20280
	v_mov_b32_e32 v74, 0                                       // 000000002CC0: 7E940280
	v_mov_b32_e32 v122, 0                                      // 000000002CC4: 7EF40280
	v_mov_b32_e32 v75, 0                                       // 000000002CC8: 7E960280
	v_mov_b32_e32 v123, 0                                      // 000000002CCC: 7EF60280
	v_mov_b32_e32 v76, 0                                       // 000000002CD0: 7E980280
	v_mov_b32_e32 v124, 0                                      // 000000002CD4: 7EF80280
	v_mov_b32_e32 v77, 0                                       // 000000002CD8: 7E9A0280
	v_mov_b32_e32 v125, 0                                      // 000000002CDC: 7EFA0280
	v_mov_b32_e32 v78, 0                                       // 000000002CE0: 7E9C0280
	v_mov_b32_e32 v126, 0                                      // 000000002CE4: 7EFC0280
	v_mov_b32_e32 v79, 0                                       // 000000002CE8: 7E9E0280
	v_mov_b32_e32 v127, 0                                      // 000000002CEC: 7EFE0280
	v_mov_b32_e32 v80, 0                                       // 000000002CF0: 7EA00280
	v_mov_b32_e32 v128, 0                                      // 000000002CF4: 7F000280
	v_mov_b32_e32 v81, 0                                       // 000000002CF8: 7EA20280
	v_mov_b32_e32 v129, 0                                      // 000000002CFC: 7F020280
	v_mov_b32_e32 v82, 0                                       // 000000002D00: 7EA40280
	v_mov_b32_e32 v130, 0                                      // 000000002D04: 7F040280
	v_mov_b32_e32 v83, 0                                       // 000000002D08: 7EA60280
	v_mov_b32_e32 v131, 0                                      // 000000002D0C: 7F060280
	v_mov_b32_e32 v84, 0                                       // 000000002D10: 7EA80280
	v_mov_b32_e32 v132, 0                                      // 000000002D14: 7F080280
	v_mov_b32_e32 v85, 0                                       // 000000002D18: 7EAA0280
	v_mov_b32_e32 v133, 0                                      // 000000002D1C: 7F0A0280
	v_mov_b32_e32 v86, 0                                       // 000000002D20: 7EAC0280
	v_mov_b32_e32 v134, 0                                      // 000000002D24: 7F0C0280
	v_mov_b32_e32 v87, 0                                       // 000000002D28: 7EAE0280
	v_mov_b32_e32 v135, 0                                      // 000000002D2C: 7F0E0280
	v_mov_b32_e32 v88, 0                                       // 000000002D30: 7EB00280
	v_mov_b32_e32 v136, 0                                      // 000000002D34: 7F100280
	v_mov_b32_e32 v89, 0                                       // 000000002D38: 7EB20280
	v_mov_b32_e32 v137, 0                                      // 000000002D3C: 7F120280
	v_mov_b32_e32 v90, 0                                       // 000000002D40: 7EB40280
	v_mov_b32_e32 v138, 0                                      // 000000002D44: 7F140280
	v_mov_b32_e32 v91, 0                                       // 000000002D48: 7EB60280
	v_mov_b32_e32 v139, 0                                      // 000000002D4C: 7F160280
	v_mov_b32_e32 v92, 0                                       // 000000002D50: 7EB80280
	v_mov_b32_e32 v140, 0                                      // 000000002D54: 7F180280
	v_mov_b32_e32 v93, 0                                       // 000000002D58: 7EBA0280
	v_mov_b32_e32 v141, 0                                      // 000000002D5C: 7F1A0280
	v_mov_b32_e32 v94, 0                                       // 000000002D60: 7EBC0280
	v_mov_b32_e32 v142, 0                                      // 000000002D64: 7F1C0280
	v_mov_b32_e32 v95, 0                                       // 000000002D68: 7EBE0280
	v_mov_b32_e32 v143, 0                                      // 000000002D6C: 7F1E0280
	v_mov_b32_e32 v96, 0                                       // 000000002D70: 7EC00280
	v_mov_b32_e32 v144, 0                                      // 000000002D74: 7F200280
	v_mov_b32_e32 v97, 0                                       // 000000002D78: 7EC20280
	v_mov_b32_e32 v145, 0                                      // 000000002D7C: 7F220280
	v_mov_b32_e32 v98, 0                                       // 000000002D80: 7EC40280
	v_mov_b32_e32 v146, 0                                      // 000000002D84: 7F240280
	v_mov_b32_e32 v99, 0                                       // 000000002D88: 7EC60280
	v_mov_b32_e32 v147, 0                                      // 000000002D8C: 7F260280
	v_mov_b32_e32 v100, 0                                      // 000000002D90: 7EC80280
	v_mov_b32_e32 v148, 0                                      // 000000002D94: 7F280280
	v_mov_b32_e32 v101, 0                                      // 000000002D98: 7ECA0280
	v_mov_b32_e32 v149, 0                                      // 000000002D9C: 7F2A0280
	v_mov_b32_e32 v102, 0                                      // 000000002DA0: 7ECC0280
	v_mov_b32_e32 v150, 0                                      // 000000002DA4: 7F2C0280
	v_mov_b32_e32 v103, 0                                      // 000000002DA8: 7ECE0280
	v_mov_b32_e32 v151, 0                                      // 000000002DAC: 7F2E0280
	v_mov_b32_e32 v104, 0                                      // 000000002DB0: 7ED00280
	v_mov_b32_e32 v152, 0                                      // 000000002DB4: 7F300280
	v_mov_b32_e32 v105, 0                                      // 000000002DB8: 7ED20280
	v_mov_b32_e32 v153, 0                                      // 000000002DBC: 7F320280
	v_mov_b32_e32 v106, 0                                      // 000000002DC0: 7ED40280
	v_mov_b32_e32 v154, 0                                      // 000000002DC4: 7F340280
	v_mov_b32_e32 v107, 0                                      // 000000002DC8: 7ED60280
	v_mov_b32_e32 v155, 0                                      // 000000002DCC: 7F360280
	v_mov_b32_e32 v108, 0                                      // 000000002DD0: 7ED80280
	v_mov_b32_e32 v156, 0                                      // 000000002DD4: 7F380280
	v_mov_b32_e32 v109, 0                                      // 000000002DD8: 7EDA0280
	v_mov_b32_e32 v157, 0                                      // 000000002DDC: 7F3A0280
	v_mov_b32_e32 v110, 0                                      // 000000002DE0: 7EDC0280
	v_mov_b32_e32 v158, 0                                      // 000000002DE4: 7F3C0280
	v_mov_b32_e32 v111, 0                                      // 000000002DE8: 7EDE0280
	v_mov_b32_e32 v159, 0                                      // 000000002DEC: 7F3E0280
	v_mov_b32_e32 v112, 0                                      // 000000002DF0: 7EE00280
	v_mov_b32_e32 v160, 0                                      // 000000002DF4: 7F400280
	v_mov_b32_e32 v113, 0                                      // 000000002DF8: 7EE20280
	v_mov_b32_e32 v161, 0                                      // 000000002DFC: 7F420280
	v_mov_b32_e32 v114, 0                                      // 000000002E00: 7EE40280
	v_mov_b32_e32 v162, 0                                      // 000000002E04: 7F440280
	v_mov_b32_e32 v115, 0                                      // 000000002E08: 7EE60280
	v_mov_b32_e32 v163, 0                                      // 000000002E0C: 7F460280
	s_mul_i32 s60, s2, 0x100                                   // 000000002E10: 923CFF02 00000100
	s_cmp_eq_u32 s88, 0                                        // 000000002E18: BF068058
	s_cselect_b32 s61, 1, 2                                    // 000000002E1C: 853D8281
	s_mul_i32 s60, s60, s61                                    // 000000002E20: 923C3D3C
	s_mov_b32 s90, s8                                          // 000000002E24: BEDA0008
	s_mov_b32 s91, s9                                          // 000000002E28: BEDB0009
	s_add_u32 s8, s60, s8                                      // 000000002E2C: 8008083C
	s_addc_u32 s9, 0, s9                                       // 000000002E30: 82090980
	v_lshrrev_b32_e32 v4, 4, v0                                // 000000002E34: 20080084
	v_mul_lo_u32 v20, 34, v4                                   // 000000002E38: D2850014 000208A2
	v_and_b32_e32 v4, 15, v0                                   // 000000002E40: 2608008F
	v_mul_lo_u32 v5, 2, v4                                     // 000000002E44: D2850005 00020882
	v_add_u32_e32 v20, v5, v20                                 // 000000002E4C: 68282905
	s_mul_i32 s60, s7, 0x88                                    // 000000002E50: 923CFF07 00000088
	v_add_u32_e32 v20, s60, v20                                // 000000002E58: 6828283C
	v_lshlrev_b32_e32 v20, 2, v20                              // 000000002E5C: 24282882
	v_and_b32_e32 v4, 31, v0                                   // 000000002E60: 2608009F
	v_lshrrev_b32_e32 v4, 1, v4                                // 000000002E64: 20080881
	v_mul_lo_u32 v21, 34, v4                                   // 000000002E68: D2850015 000208A2
	v_lshrrev_b32_e32 v4, 5, v0                                // 000000002E70: 20080085
	v_mul_lo_u32 v4, 8, v4                                     // 000000002E74: D2850004 00020888
	v_add_u32_e32 v21, v21, v4                                 // 000000002E7C: 682A0915
	v_and_b32_e32 v5, 1, v0                                    // 000000002E80: 260A0081
	v_add_u32_e32 v21, v5, v21                                 // 000000002E84: 682A2B05
	s_mul_i32 s60, s7, 2                                       // 000000002E88: 923C8207
	v_add_u32_e32 v21, s60, v21                                // 000000002E8C: 682A2A3C
	v_lshlrev_b32_e32 v21, 2, v21                              // 000000002E90: 242A2A82
	s_mul_i32 s60, s7, 0xc20                                   // 000000002E94: 923CFF07 00000C20
	s_add_u32 s48, 0, s60                                      // 000000002E9C: 80303C80
	s_add_u32 s49, 0x3080, s48                                 // 000000002EA0: 803130FF 00003080
	v_lshrrev_b32_e32 v4, 4, v0                                // 000000002EA8: 20080084
	v_lshlrev_b32_e32 v5, 2, v4                                // 000000002EAC: 240A0882
	v_and_b32_e32 v4, 15, v0                                   // 000000002EB0: 2608008F
	v_lshrrev_b32_e32 v6, 2, v4                                // 000000002EB4: 200C0882
	v_lshlrev_b32_e32 v6, 5, v6                                // 000000002EB8: 240C0C85
	v_add_u32_e32 v5, v6, v5                                   // 000000002EBC: 680A0B06
	v_and_b32_e32 v4, 3, v0                                    // 000000002EC0: 26080083
	v_mul_u32_u24_e32 v6, 0x308, v4                            // 000000002EC4: 100C08FF 00000308
	v_add_u32_e32 v5, v6, v5                                   // 000000002ECC: 680A0B06
	v_lshlrev_b32_e32 v2, 2, v5                                // 000000002ED0: 24040A82
	s_waitcnt lgkmcnt(0)                                       // 000000002ED4: BF8CC07F
	s_mul_i32 s60, s2, 0x80                                    // 000000002ED8: 923CFF02 00000080
	s_mul_i32 s60, s60, s69                                    // 000000002EE0: 923C453C
	s_mul_i32 s61, s5, s72                                     // 000000002EE4: 923D4805
	s_add_u32 s60, s61, s60                                    // 000000002EE8: 803C3C3D
	s_add_u32 s24, s60, s24                                    // 000000002EEC: 8018183C
	s_addc_u32 s25, 0, s25                                     // 000000002EF0: 82191980
	s_lshr_b32 s60, s64, s88                                   // 000000002EF4: 8F3C5840
	s_mul_i32 s60, s4, s60                                     // 000000002EF8: 923C3C04
	s_lshr_b32 s60, s60, 7                                     // 000000002EFC: 8F3C873C
	s_mul_i32 s60, s60, 0x800                                  // 000000002F00: 923CFF3C 00000800
	s_add_u32 s24, s60, s24                                    // 000000002F08: 8018183C
	s_addc_u32 s25, 0, s25                                     // 000000002F0C: 82191980
	s_lshr_b32 s60, s69, s88                                   // 000000002F10: 8F3C5845
	s_mul_i32 s60, s4, s60                                     // 000000002F14: 923C3C04
	s_add_u32 s20, s60, s20                                    // 000000002F18: 8014143C
	s_addc_u32 s21, 0, s21                                     // 000000002F1C: 82151580
	s_mul_i32 s60, s7, 16                                      // 000000002F20: 923C9007
	s_mul_i32 s60, s60, s69                                    // 000000002F24: 923C453C
	v_lshlrev_b32_e32 v64, 4, v0                               // 000000002F28: 24800084
	v_add_u32_e32 v64, s60, v64                                // 000000002F2C: 6880803C
	s_mul_i32 s60, 64, s69                                     // 000000002F30: 923C45C0
	v_add_u32_e32 v65, s60, v64                                // 000000002F34: 6882803C
	s_mov_b32 s84, s24                                         // 000000002F38: BED40018
	s_mov_b32 s85, s25                                         // 000000002F3C: BED50019
	s_mov_b32 s86, s26                                         // 000000002F40: BED6001A
	s_mov_b32 s87, s27                                         // 000000002F44: BED7001B
	s_mul_i32 s60, s69, s65                                    // 000000002F48: 923C4145
	s_add_u32 s84, s60, s84                                    // 000000002F4C: 8054543C
	s_addc_u32 s85, 0, s85                                     // 000000002F50: 82555580
	v_lshrrev_b32_e32 v4, 4, v0                                // 000000002F54: 20080084
	v_lshlrev_b32_e32 v5, 2, v4                                // 000000002F58: 240A0882
	v_and_b32_e32 v4, 15, v0                                   // 000000002F5C: 2608008F
	v_lshrrev_b32_e32 v6, 2, v4                                // 000000002F60: 200C0882
	v_lshlrev_b32_e32 v6, 6, v6                                // 000000002F64: 240C0C86
	v_add_u32_e32 v5, v6, v5                                   // 000000002F68: 680A0B06
	v_and_b32_e32 v4, 3, v0                                    // 000000002F6C: 26080083
	v_add_u32_e32 v5, v4, v5                                   // 000000002F70: 680A0B04
	v_lshlrev_b32_e32 v22, 2, v5                               // 000000002F74: 242C0A82
	s_mul_i32 s60, s7, 16                                      // 000000002F78: 923C9007
	s_mul_i32 s60, s60, 4                                      // 000000002F7C: 923C843C
	v_add_u32_e32 v22, s60, v22                                // 000000002F80: 682C2C3C
	s_mul_i32 s60, s2, 0x80                                    // 000000002F84: 923CFF02 00000080
	s_mul_i32 s60, s60, 4                                      // 000000002F8C: 923C843C
	s_mul_i32 s61, s5, s74                                     // 000000002F90: 923D4A05
	s_add_u32 s61, s61, s60                                    // 000000002F94: 803D3C3D
	s_add_u32 s32, s61, s32                                    // 000000002F98: 8020203D
	s_addc_u32 s33, 0, s33                                     // 000000002F9C: 82212180
	s_mov_b32 s57, 0x80                                        // 000000002FA0: BEB900FF 00000080
	s_mov_b32 s58, 0x800                                       // 000000002FA8: BEBA00FF 00000800
	s_mov_b32 s83, s58                                         // 000000002FB0: BED3003A
	s_mov_b32 s52, 0x7060302                                   // 000000002FB4: BEB400FF 07060302
	s_mov_b32 s53, 0x400                                       // 000000002FBC: BEB500FF 00000400
	s_mov_b32 s54, 0x40100                                     // 000000002FC4: BEB600FF 00040100
	s_mov_b32 s55, 0x4020100                                   // 000000002FCC: BEB700FF 04020100
	s_mov_b32 s6, 0x3fb8aa3b                                   // 000000002FD4: BE8600FF 3FB8AA3B
	s_mov_b32 s78, 0xbd92220c                                  // 000000002FDC: BECE00FF BD92220C
	s_mov_b32 s79, 0xbd92220c                                  // 000000002FE4: BECF00FF BD92220C
	s_mov_b32 m0, s48                                          // 000000002FEC: BEFC0030
	v_mov_b32_e32 v1, 0xbfcc4231                               // 000000002FF0: 7E0202FF BFCC4231
	v_mov_b32_e32 v17, 0xffff0000                              // 000000002FF8: 7E2202FF FFFF0000
	v_mov_b32_e32 v18, 0x7fff0000                              // 000000003000: 7E2402FF 7FFF0000
	v_mov_b32_e32 v19, 0x7fff                                  // 000000003008: 7E2602FF 00007FFF
	s_waitcnt vmcnt(0) expcnt(0) lgkmcnt(0)                    // 000000003010: BF8C0000
	v_lshrrev_b32_e32 v4, 5, v0                                // 000000003014: 20080085
	v_xor_b32_e32 v5, 1, v4                                    // 000000003018: 2A0A0881
	v_readlane_b32 s82, v3, 0                                  // 00000000301C: D2890052 00010103
	s_and_b32 s82, s82, 0xffffff                               // 000000003024: 8652FF52 00FFFFFF
	v_mul_lo_u32 v6, v5, s82                                   // 00000000302C: D2850006 0000A505
	v_readlane_b32 s82, v3, 1                                  // 000000003034: D2890052 00010303
	s_and_b32 s82, s82, 0xffffff                               // 00000000303C: 8652FF52 00FFFFFF
	v_mul_lo_u32 v7, v4, s82                                   // 000000003044: D2850007 0000A504
	v_add_u32_e32 v52, v6, v7                                  // 00000000304C: 68680F06
	v_mul_lo_u32 v52, v52, s68                                 // 000000003050: D2850034 00008934
	v_readlane_b32 s82, v3, 2                                  // 000000003058: D2890052 00010503
	s_and_b32 s82, s82, 0xffffff                               // 000000003060: 8652FF52 00FFFFFF
	v_mul_lo_u32 v6, v5, s82                                   // 000000003068: D2850006 0000A505
	v_readlane_b32 s82, v3, 3                                  // 000000003070: D2890052 00010703
	s_and_b32 s82, s82, 0xffffff                               // 000000003078: 8652FF52 00FFFFFF
	v_mul_lo_u32 v7, v4, s82                                   // 000000003080: D2850007 0000A504
	v_add_u32_e32 v53, v6, v7                                  // 000000003088: 686A0F06
	v_mul_lo_u32 v53, v53, s68                                 // 00000000308C: D2850035 00008935
	v_readlane_b32 s82, v3, 4                                  // 000000003094: D2890052 00010903
	s_and_b32 s82, s82, 0xffffff                               // 00000000309C: 8652FF52 00FFFFFF
	v_mul_lo_u32 v6, v5, s82                                   // 0000000030A4: D2850006 0000A505
	v_readlane_b32 s82, v3, 5                                  // 0000000030AC: D2890052 00010B03
	s_and_b32 s82, s82, 0xffffff                               // 0000000030B4: 8652FF52 00FFFFFF
	v_mul_lo_u32 v7, v4, s82                                   // 0000000030BC: D2850007 0000A504
	v_add_u32_e32 v54, v6, v7                                  // 0000000030C4: 686C0F06
	v_mul_lo_u32 v54, v54, s68                                 // 0000000030C8: D2850036 00008936
	v_readlane_b32 s82, v3, 6                                  // 0000000030D0: D2890052 00010D03
	s_and_b32 s82, s82, 0xffffff                               // 0000000030D8: 8652FF52 00FFFFFF
	v_mul_lo_u32 v6, v5, s82                                   // 0000000030E0: D2850006 0000A505
	v_readlane_b32 s82, v3, 7                                  // 0000000030E8: D2890052 00010F03
	s_and_b32 s82, s82, 0xffffff                               // 0000000030F0: 8652FF52 00FFFFFF
	v_mul_lo_u32 v7, v4, s82                                   // 0000000030F8: D2850007 0000A504
	v_add_u32_e32 v55, v6, v7                                  // 000000003100: 686E0F06
	v_mul_lo_u32 v55, v55, s68                                 // 000000003104: D2850037 00008937
	v_readlane_b32 s82, v3, 8                                  // 00000000310C: D2890052 00011103
	s_and_b32 s82, s82, 0xffffff                               // 000000003114: 8652FF52 00FFFFFF
	v_mul_lo_u32 v6, v5, s82                                   // 00000000311C: D2850006 0000A505
	v_readlane_b32 s82, v3, 9                                  // 000000003124: D2890052 00011303
	s_and_b32 s82, s82, 0xffffff                               // 00000000312C: 8652FF52 00FFFFFF
	v_mul_lo_u32 v7, v4, s82                                   // 000000003134: D2850007 0000A504
	v_add_u32_e32 v56, v6, v7                                  // 00000000313C: 68700F06
	v_mul_lo_u32 v56, v56, s68                                 // 000000003140: D2850038 00008938
	v_readlane_b32 s82, v3, 10                                 // 000000003148: D2890052 00011503
	s_and_b32 s82, s82, 0xffffff                               // 000000003150: 8652FF52 00FFFFFF
	v_mul_lo_u32 v6, v5, s82                                   // 000000003158: D2850006 0000A505
	v_readlane_b32 s82, v3, 11                                 // 000000003160: D2890052 00011703
	s_and_b32 s82, s82, 0xffffff                               // 000000003168: 8652FF52 00FFFFFF
	v_mul_lo_u32 v7, v4, s82                                   // 000000003170: D2850007 0000A504
	v_add_u32_e32 v57, v6, v7                                  // 000000003178: 68720F06
	v_mul_lo_u32 v57, v57, s68                                 // 00000000317C: D2850039 00008939
	v_readlane_b32 s82, v3, 12                                 // 000000003184: D2890052 00011903
	s_and_b32 s82, s82, 0xffffff                               // 00000000318C: 8652FF52 00FFFFFF
	v_mul_lo_u32 v6, v5, s82                                   // 000000003194: D2850006 0000A505
	v_readlane_b32 s82, v3, 13                                 // 00000000319C: D2890052 00011B03
	s_and_b32 s82, s82, 0xffffff                               // 0000000031A4: 8652FF52 00FFFFFF
	v_mul_lo_u32 v7, v4, s82                                   // 0000000031AC: D2850007 0000A504
	v_add_u32_e32 v58, v6, v7                                  // 0000000031B4: 68740F06
	v_mul_lo_u32 v58, v58, s68                                 // 0000000031B8: D285003A 0000893A
	v_readlane_b32 s82, v3, 14                                 // 0000000031C0: D2890052 00011D03
	s_and_b32 s82, s82, 0xffffff                               // 0000000031C8: 8652FF52 00FFFFFF
	v_mul_lo_u32 v6, v5, s82                                   // 0000000031D0: D2850006 0000A505
	v_readlane_b32 s82, v3, 15                                 // 0000000031D8: D2890052 00011F03
	s_and_b32 s82, s82, 0xffffff                               // 0000000031E0: 8652FF52 00FFFFFF
	v_mul_lo_u32 v7, v4, s82                                   // 0000000031E8: D2850007 0000A504
	v_add_u32_e32 v59, v6, v7                                  // 0000000031F0: 68760F06
	v_mul_lo_u32 v59, v59, s68                                 // 0000000031F4: D285003B 0000893B
	v_readlane_b32 s82, v3, 16                                 // 0000000031FC: D2890052 00012103
	s_and_b32 s82, s82, 0xffffff                               // 000000003204: 8652FF52 00FFFFFF
	v_mul_lo_u32 v6, v5, s82                                   // 00000000320C: D2850006 0000A505
	v_readlane_b32 s82, v3, 17                                 // 000000003214: D2890052 00012303
	s_and_b32 s82, s82, 0xffffff                               // 00000000321C: 8652FF52 00FFFFFF
	v_mul_lo_u32 v7, v4, s82                                   // 000000003224: D2850007 0000A504
	v_add_u32_e32 v60, v6, v7                                  // 00000000322C: 68780F06
	v_mul_lo_u32 v60, v60, s68                                 // 000000003230: D285003C 0000893C
	v_readlane_b32 s82, v3, 18                                 // 000000003238: D2890052 00012503
	s_and_b32 s82, s82, 0xffffff                               // 000000003240: 8652FF52 00FFFFFF
	v_mul_lo_u32 v6, v5, s82                                   // 000000003248: D2850006 0000A505
	v_readlane_b32 s82, v3, 19                                 // 000000003250: D2890052 00012703
	s_and_b32 s82, s82, 0xffffff                               // 000000003258: 8652FF52 00FFFFFF
	v_mul_lo_u32 v7, v4, s82                                   // 000000003260: D2850007 0000A504
	v_add_u32_e32 v61, v6, v7                                  // 000000003268: 687A0F06
	v_mul_lo_u32 v61, v61, s68                                 // 00000000326C: D285003D 0000893D
	v_readlane_b32 s82, v3, 20                                 // 000000003274: D2890052 00012903
	s_and_b32 s82, s82, 0xffffff                               // 00000000327C: 8652FF52 00FFFFFF
	v_mul_lo_u32 v6, v5, s82                                   // 000000003284: D2850006 0000A505
	v_readlane_b32 s82, v3, 21                                 // 00000000328C: D2890052 00012B03
	s_and_b32 s82, s82, 0xffffff                               // 000000003294: 8652FF52 00FFFFFF
	v_mul_lo_u32 v7, v4, s82                                   // 00000000329C: D2850007 0000A504
	v_add_u32_e32 v62, v6, v7                                  // 0000000032A4: 687C0F06
	v_mul_lo_u32 v62, v62, s68                                 // 0000000032A8: D285003E 0000893E
	v_readlane_b32 s82, v3, 22                                 // 0000000032B0: D2890052 00012D03
	s_and_b32 s82, s82, 0xffffff                               // 0000000032B8: 8652FF52 00FFFFFF
	v_mul_lo_u32 v6, v5, s82                                   // 0000000032C0: D2850006 0000A505
	v_readlane_b32 s82, v3, 23                                 // 0000000032C8: D2890052 00012F03
	s_and_b32 s82, s82, 0xffffff                               // 0000000032D0: 8652FF52 00FFFFFF
	v_mul_lo_u32 v7, v4, s82                                   // 0000000032D8: D2850007 0000A504
	v_add_u32_e32 v63, v6, v7                                  // 0000000032E0: 687E0F06
	v_mul_lo_u32 v63, v63, s68                                 // 0000000032E4: D285003F 0000893F
	v_and_b32_e32 v4, 31, v0                                   // 0000000032EC: 2608009F
	v_lshlrev_b32_e32 v4, 2, v4                                // 0000000032F0: 24080882
	v_add_u32_e32 v52, v52, v4                                 // 0000000032F4: 68680934
	v_add_u32_e32 v53, v53, v4                                 // 0000000032F8: 686A0935
	v_add_u32_e32 v54, v54, v4                                 // 0000000032FC: 686C0936
	v_add_u32_e32 v55, v55, v4                                 // 000000003300: 686E0937
	v_add_u32_e32 v56, v56, v4                                 // 000000003304: 68700938
	v_add_u32_e32 v57, v57, v4                                 // 000000003308: 68720939
	v_add_u32_e32 v58, v58, v4                                 // 00000000330C: 6874093A
	v_add_u32_e32 v59, v59, v4                                 // 000000003310: 6876093B
	v_add_u32_e32 v60, v60, v4                                 // 000000003314: 6878093C
	v_add_u32_e32 v61, v61, v4                                 // 000000003318: 687A093D
	v_add_u32_e32 v62, v62, v4                                 // 00000000331C: 687C093E
	v_add_u32_e32 v63, v63, v4                                 // 000000003320: 687E093F
	v_and_b32_e32 v28, 0xffffff, v28                           // 000000003324: 263838FF 00FFFFFF
	v_lshlrev_b32_e32 v28, 2, v28                              // 00000000332C: 24383882
	v_and_b32_e32 v29, 0xffffff, v29                           // 000000003330: 263A3AFF 00FFFFFF
	v_lshlrev_b32_e32 v29, 2, v29                              // 000000003338: 243A3A82
	v_and_b32_e32 v30, 0xffffff, v30                           // 00000000333C: 263C3CFF 00FFFFFF
	v_lshlrev_b32_e32 v30, 2, v30                              // 000000003344: 243C3C82
	v_and_b32_e32 v31, 0xffffff, v31                           // 000000003348: 263E3EFF 00FFFFFF
	v_lshlrev_b32_e32 v31, 2, v31                              // 000000003350: 243E3E82
	v_and_b32_e32 v32, 0xffffff, v32                           // 000000003354: 264040FF 00FFFFFF
	v_lshlrev_b32_e32 v32, 2, v32                              // 00000000335C: 24404082
	v_and_b32_e32 v33, 0xffffff, v33                           // 000000003360: 264242FF 00FFFFFF
	v_lshlrev_b32_e32 v33, 2, v33                              // 000000003368: 24424282
	s_lshl_b32 s3, s66, 2                                      // 00000000336C: 8E038242
	buffer_load_dword v34, v28, s[28:31], 0 offen              // 000000003370: E0501000 8007221C
	buffer_load_dword v35, v29, s[28:31], 0 offen              // 000000003378: E0501000 8007231D
	buffer_load_dword v36, v30, s[28:31], 0 offen              // 000000003380: E0501000 8007241E
	buffer_load_dword v37, v31, s[28:31], 0 offen              // 000000003388: E0501000 8007251F
	buffer_load_dword v38, v32, s[28:31], 0 offen              // 000000003390: E0501000 80072620
	buffer_load_dword v39, v33, s[28:31], 0 offen              // 000000003398: E0501000 80072721
	buffer_load_dword v24, v22, s[32:35], 0 offen              // 0000000033A0: E0501000 80081816
	s_mul_i32 s60, 4, s65                                      // 0000000033A8: 923C4184
	s_add_u32 s32, s60, s32                                    // 0000000033AC: 8020203C
	s_addc_u32 s33, 0, s33                                     // 0000000033B0: 82212180
	buffer_load_dword v26, v22, s[32:35], 0 offen              // 0000000033B4: E0501000 80081A16
	buffer_load_dword v52, s[20:23], 0 offen lds               // 0000000033BC: E0511000 80050034
	s_add_u32 m0, 0x100, s48                                   // 0000000033C4: 807C30FF 00000100
	buffer_load_dword v53, s[20:23], 0 offen lds               // 0000000033CC: E0511000 80050035
	s_add_u32 m0, 0x200, s48                                   // 0000000033D4: 807C30FF 00000200
	buffer_load_dword v54, s[20:23], 0 offen lds               // 0000000033DC: E0511000 80050036
	s_add_u32 m0, 0x300, s48                                   // 0000000033E4: 807C30FF 00000300
	buffer_load_dword v55, s[20:23], 0 offen lds               // 0000000033EC: E0511000 80050037
	s_add_u32 m0, 0x400, s48                                   // 0000000033F4: 807C30FF 00000400
	buffer_load_dword v56, s[20:23], 0 offen lds               // 0000000033FC: E0511000 80050038
	s_add_u32 m0, 0x500, s48                                   // 000000003404: 807C30FF 00000500
	buffer_load_dword v57, s[20:23], 0 offen lds               // 00000000340C: E0511000 80050039
	s_add_u32 m0, 0x600, s48                                   // 000000003414: 807C30FF 00000600
	buffer_load_dword v58, s[20:23], 0 offen lds               // 00000000341C: E0511000 8005003A
	s_add_u32 m0, 0x700, s48                                   // 000000003424: 807C30FF 00000700
	buffer_load_dword v59, s[20:23], 0 offen lds               // 00000000342C: E0511000 8005003B
	s_add_u32 m0, 0x800, s48                                   // 000000003434: 807C30FF 00000800
	buffer_load_dword v60, s[20:23], 0 offen lds               // 00000000343C: E0511000 8005003C
	s_add_u32 m0, 0x900, s48                                   // 000000003444: 807C30FF 00000900
	buffer_load_dword v61, s[20:23], 0 offen lds               // 00000000344C: E0511000 8005003D
	s_add_u32 m0, 0xa00, s48                                   // 000000003454: 807C30FF 00000A00
	buffer_load_dword v62, s[20:23], 0 offen lds               // 00000000345C: E0511000 8005003E
	s_add_u32 m0, 0xb00, s48                                   // 000000003464: 807C30FF 00000B00
	buffer_load_dword v63, s[20:23], 0 offen lds               // 00000000346C: E0511000 8005003F
	s_add_u32 m0, 0, s49                                       // 000000003474: 807C3180
	s_add_u32 s20, s57, s20                                    // 000000003478: 80141439
	s_addc_u32 s21, 0, s21                                     // 00000000347C: 82151580
	buffer_load_dword v52, s[20:23], 0 offen lds               // 000000003480: E0511000 80050034
	s_add_u32 m0, 0x100, s49                                   // 000000003488: 807C31FF 00000100
	buffer_load_dword v53, s[20:23], 0 offen lds               // 000000003490: E0511000 80050035
	s_add_u32 m0, 0x200, s49                                   // 000000003498: 807C31FF 00000200
	buffer_load_dword v54, s[20:23], 0 offen lds               // 0000000034A0: E0511000 80050036
	s_add_u32 m0, 0x300, s49                                   // 0000000034A8: 807C31FF 00000300
	buffer_load_dword v55, s[20:23], 0 offen lds               // 0000000034B0: E0511000 80050037
	s_add_u32 m0, 0x400, s49                                   // 0000000034B8: 807C31FF 00000400
	buffer_load_dword v56, s[20:23], 0 offen lds               // 0000000034C0: E0511000 80050038
	s_add_u32 m0, 0x500, s49                                   // 0000000034C8: 807C31FF 00000500
	buffer_load_dword v57, s[20:23], 0 offen lds               // 0000000034D0: E0511000 80050039
	s_add_u32 m0, 0x600, s49                                   // 0000000034D8: 807C31FF 00000600
	buffer_load_dword v58, s[20:23], 0 offen lds               // 0000000034E0: E0511000 8005003A
	s_add_u32 m0, 0x700, s49                                   // 0000000034E8: 807C31FF 00000700
	buffer_load_dword v59, s[20:23], 0 offen lds               // 0000000034F0: E0511000 8005003B
	s_add_u32 m0, 0x800, s49                                   // 0000000034F8: 807C31FF 00000800
	buffer_load_dword v60, s[20:23], 0 offen lds               // 000000003500: E0511000 8005003C
	s_add_u32 m0, 0x900, s49                                   // 000000003508: 807C31FF 00000900
	buffer_load_dword v61, s[20:23], 0 offen lds               // 000000003510: E0511000 8005003D
	s_add_u32 m0, 0xa00, s49                                   // 000000003518: 807C31FF 00000A00
	buffer_load_dword v62, s[20:23], 0 offen lds               // 000000003520: E0511000 8005003E
	s_add_u32 m0, 0xb00, s49                                   // 000000003528: 807C31FF 00000B00
	buffer_load_dword v63, s[20:23], 0 offen lds               // 000000003530: E0511000 8005003F
	s_add_u32 m0, 0, s48                                       // 000000003538: 807C3080
	s_add_u32 s20, s57, s20                                    // 00000000353C: 80141439
	s_addc_u32 s21, 0, s21                                     // 000000003540: 82151580
	buffer_load_dwordx4 a[96:99], v64, s[24:27], 0 offen       // 000000003544: E05C1000 80866040
	buffer_load_dwordx4 a[100:103], v64, s[24:27], 0 offen offset:1024// 00000000354C: E05C1400 80866440
	buffer_load_dwordx4 a[104:107], v65, s[24:27], 0 offen     // 000000003554: E05C1000 80866841
	buffer_load_dwordx4 a[108:111], v65, s[24:27], 0 offen offset:1024// 00000000355C: E05C1400 80866C41
	s_add_u32 s24, s58, s24                                    // 000000003564: 8018183A
	s_addc_u32 s25, 0, s25                                     // 000000003568: 82191980
	s_waitcnt vmcnt(16)                                        // 00000000356C: BF8C4F70
	s_barrier                                                  // 000000003570: BF8A0000
	ds_read_b128 a[0:3], v2                                    // 000000003574: DBFE0000 00000002
	ds_read_b128 a[4:7], v2 offset:64                          // 00000000357C: DBFE0040 04000002
	ds_read_b128 a[8:11], v2 offset:512                        // 000000003584: DBFE0200 08000002
	ds_read_b128 a[12:15], v2 offset:576                       // 00000000358C: DBFE0240 0C000002
	ds_read_b128 a[16:19], v2 offset:1024                      // 000000003594: DBFE0400 10000002
	ds_read_b128 a[20:23], v2 offset:1088                      // 00000000359C: DBFE0440 14000002
	ds_read_b128 a[24:27], v2 offset:1536                      // 0000000035A4: DBFE0600 18000002
	ds_read_b128 a[28:31], v2 offset:1600                      // 0000000035AC: DBFE0640 1C000002
	ds_read_b128 a[32:35], v2 offset:2048                      // 0000000035B4: DBFE0800 20000002
	ds_read_b128 a[36:39], v2 offset:2112                      // 0000000035BC: DBFE0840 24000002
	ds_read_b128 a[40:43], v2 offset:2560                      // 0000000035C4: DBFE0A00 28000002
	ds_read_b128 a[44:47], v2 offset:2624                      // 0000000035CC: DBFE0A40 2C000002
	s_cmp_lt_i32 s7, 2                                         // 0000000035D4: BF048207
	s_cbranch_scc0 label_140C                                  // 0000000035D8: BF841112

00000000000035dc <label_02F7>:
	s_waitcnt vmcnt(2) lgkmcnt(0)                              // 0000000035DC: BF8C0072
	s_barrier                                                  // 0000000035E0: BF8A0000
	v_mfma_i32_16x16x32_i8 v[68:71], a[96:97], a[0:1], v[68:71]// 0000000035E4: D3D70044 1D120160
	v_mfma_i32_16x16x32_i8 v[68:71], a[98:99], a[2:3], v[68:71]// 0000000035EC: D3D70044 1D120562
	buffer_load_dwordx4 a[112:115], v64, s[84:87], 0 offen     // 0000000035F4: E05C1000 80957040
	v_mfma_i32_16x16x32_i8 v[68:71], a[100:101], a[4:5], v[68:71]// 0000000035FC: D3D70044 1D120964
	v_mfma_i32_16x16x32_i8 v[68:71], a[102:103], a[6:7], v[68:71]// 000000003604: D3D70044 1D120D66
	v_mfma_i32_16x16x32_i8 v[72:75], a[96:97], a[8:9], v[72:75]// 00000000360C: D3D70048 1D221160
	v_mfma_i32_16x16x32_i8 v[72:75], a[98:99], a[10:11], v[72:75]// 000000003614: D3D70048 1D221562
	buffer_load_dwordx4 a[116:119], v64, s[84:87], 0 offen offset:1024// 00000000361C: E05C1400 80957440
	v_mfma_i32_16x16x32_i8 v[72:75], a[100:101], a[12:13], v[72:75]// 000000003624: D3D70048 1D221964
	v_mfma_i32_16x16x32_i8 v[72:75], a[102:103], a[14:15], v[72:75]// 00000000362C: D3D70048 1D221D66
	v_mfma_i32_16x16x32_i8 v[76:79], a[96:97], a[16:17], v[76:79]// 000000003634: D3D7004C 1D322160
	v_mfma_i32_16x16x32_i8 v[76:79], a[98:99], a[18:19], v[76:79]// 00000000363C: D3D7004C 1D322562
	buffer_load_dwordx4 a[120:123], v65, s[84:87], 0 offen     // 000000003644: E05C1000 80957841
	v_mfma_i32_16x16x32_i8 v[76:79], a[100:101], a[20:21], v[76:79]// 00000000364C: D3D7004C 1D322964
	v_mfma_i32_16x16x32_i8 v[76:79], a[102:103], a[22:23], v[76:79]// 000000003654: D3D7004C 1D322D66
	v_mfma_i32_16x16x32_i8 v[80:83], a[96:97], a[24:25], v[80:83]// 00000000365C: D3D70050 1D423160
	v_mfma_i32_16x16x32_i8 v[80:83], a[98:99], a[26:27], v[80:83]// 000000003664: D3D70050 1D423562
	buffer_load_dwordx4 a[124:127], v65, s[84:87], 0 offen offset:1024// 00000000366C: E05C1400 80957C41
	buffer_load_dword v52, s[20:23], 0 offen lds               // 000000003674: E0511000 80050034
	s_add_u32 m0, 0x100, s48                                   // 00000000367C: 807C30FF 00000100
	v_mfma_i32_16x16x32_i8 v[80:83], a[100:101], a[28:29], v[80:83]// 000000003684: D3D70050 1D423964
	v_mfma_i32_16x16x32_i8 v[80:83], a[102:103], a[30:31], v[80:83]// 00000000368C: D3D70050 1D423D66
	buffer_load_dword v53, s[20:23], 0 offen lds               // 000000003694: E0511000 80050035
	s_add_u32 m0, 0x200, s48                                   // 00000000369C: 807C30FF 00000200
	v_mfma_i32_16x16x32_i8 v[84:87], a[96:97], a[32:33], v[84:87]// 0000000036A4: D3D70054 1D524160
	v_mfma_i32_16x16x32_i8 v[84:87], a[98:99], a[34:35], v[84:87]// 0000000036AC: D3D70054 1D524562
	buffer_load_dword v54, s[20:23], 0 offen lds               // 0000000036B4: E0511000 80050036
	s_add_u32 m0, 0x300, s48                                   // 0000000036BC: 807C30FF 00000300
	v_mfma_i32_16x16x32_i8 v[84:87], a[100:101], a[36:37], v[84:87]// 0000000036C4: D3D70054 1D524964
	v_mfma_i32_16x16x32_i8 v[84:87], a[102:103], a[38:39], v[84:87]// 0000000036CC: D3D70054 1D524D66
	buffer_load_dword v55, s[20:23], 0 offen lds               // 0000000036D4: E0511000 80050037
	s_add_u32 m0, 0x400, s48                                   // 0000000036DC: 807C30FF 00000400
	v_mfma_i32_16x16x32_i8 v[88:91], a[96:97], a[40:41], v[88:91]// 0000000036E4: D3D70058 1D625160
	v_mfma_i32_16x16x32_i8 v[88:91], a[98:99], a[42:43], v[88:91]// 0000000036EC: D3D70058 1D625562
	buffer_load_dword v56, s[20:23], 0 offen lds               // 0000000036F4: E0511000 80050038
	s_add_u32 m0, 0x500, s48                                   // 0000000036FC: 807C30FF 00000500
	v_mfma_i32_16x16x32_i8 v[88:91], a[100:101], a[44:45], v[88:91]// 000000003704: D3D70058 1D625964
	v_mfma_i32_16x16x32_i8 v[88:91], a[102:103], a[46:47], v[88:91]// 00000000370C: D3D70058 1D625D66
	buffer_load_dword v57, s[20:23], 0 offen lds               // 000000003714: E0511000 80050039
	s_add_u32 m0, 0x600, s48                                   // 00000000371C: 807C30FF 00000600
	s_waitcnt vmcnt(10)                                        // 000000003724: BF8C0F7A
	v_mfma_i32_16x16x32_i8 v[92:95], a[104:105], a[0:1], v[92:95]// 000000003728: D3D7005C 1D720168
	v_mfma_i32_16x16x32_i8 v[92:95], a[106:107], a[2:3], v[92:95]// 000000003730: D3D7005C 1D72056A
	buffer_load_dword v58, s[20:23], 0 offen lds               // 000000003738: E0511000 8005003A
	s_add_u32 m0, 0x700, s48                                   // 000000003740: 807C30FF 00000700
	v_mfma_i32_16x16x32_i8 v[92:95], a[108:109], a[4:5], v[92:95]// 000000003748: D3D7005C 1D72096C
	v_mfma_i32_16x16x32_i8 v[92:95], a[110:111], a[6:7], v[92:95]// 000000003750: D3D7005C 1D720D6E
	buffer_load_dword v59, s[20:23], 0 offen lds               // 000000003758: E0511000 8005003B
	s_add_u32 m0, 0x800, s48                                   // 000000003760: 807C30FF 00000800
	v_mfma_i32_16x16x32_i8 v[96:99], a[104:105], a[8:9], v[96:99]// 000000003768: D3D70060 1D821168
	v_mfma_i32_16x16x32_i8 v[96:99], a[106:107], a[10:11], v[96:99]// 000000003770: D3D70060 1D82156A
	buffer_load_dword v60, s[20:23], 0 offen lds               // 000000003778: E0511000 8005003C
	s_add_u32 m0, 0x900, s48                                   // 000000003780: 807C30FF 00000900
	v_mfma_i32_16x16x32_i8 v[96:99], a[108:109], a[12:13], v[96:99]// 000000003788: D3D70060 1D82196C
	v_mfma_i32_16x16x32_i8 v[96:99], a[110:111], a[14:15], v[96:99]// 000000003790: D3D70060 1D821D6E
	buffer_load_dword v61, s[20:23], 0 offen lds               // 000000003798: E0511000 8005003D
	s_add_u32 m0, 0xa00, s48                                   // 0000000037A0: 807C30FF 00000A00
	v_mfma_i32_16x16x32_i8 v[100:103], a[104:105], a[16:17], v[100:103]// 0000000037A8: D3D70064 1D922168
	v_mfma_i32_16x16x32_i8 v[100:103], a[106:107], a[18:19], v[100:103]// 0000000037B0: D3D70064 1D92256A
	buffer_load_dword v62, s[20:23], 0 offen lds               // 0000000037B8: E0511000 8005003E
	s_add_u32 m0, 0xb00, s48                                   // 0000000037C0: 807C30FF 00000B00
	v_mfma_i32_16x16x32_i8 v[100:103], a[108:109], a[20:21], v[100:103]// 0000000037C8: D3D70064 1D92296C
	v_mfma_i32_16x16x32_i8 v[100:103], a[110:111], a[22:23], v[100:103]// 0000000037D0: D3D70064 1D922D6E
	buffer_load_dword v63, s[20:23], 0 offen lds               // 0000000037D8: E0511000 8005003F
	s_add_u32 m0, 0, s49                                       // 0000000037E0: 807C3180
	v_mfma_i32_16x16x32_i8 v[104:107], a[104:105], a[24:25], v[104:107]// 0000000037E4: D3D70068 1DA23168
	v_mfma_i32_16x16x32_i8 v[104:107], a[106:107], a[26:27], v[104:107]// 0000000037EC: D3D70068 1DA2356A
	v_mfma_i32_16x16x32_i8 v[104:107], a[108:109], a[28:29], v[104:107]// 0000000037F4: D3D70068 1DA2396C
	v_mfma_i32_16x16x32_i8 v[104:107], a[110:111], a[30:31], v[104:107]// 0000000037FC: D3D70068 1DA23D6E
	v_mfma_i32_16x16x32_i8 v[108:111], a[104:105], a[32:33], v[108:111]// 000000003804: D3D7006C 1DB24168
	v_mfma_i32_16x16x32_i8 v[108:111], a[106:107], a[34:35], v[108:111]// 00000000380C: D3D7006C 1DB2456A
	v_mfma_i32_16x16x32_i8 v[108:111], a[108:109], a[36:37], v[108:111]// 000000003814: D3D7006C 1DB2496C
	v_mfma_i32_16x16x32_i8 v[108:111], a[110:111], a[38:39], v[108:111]// 00000000381C: D3D7006C 1DB24D6E
	v_mfma_i32_16x16x32_i8 v[112:115], a[104:105], a[40:41], v[112:115]// 000000003824: D3D70070 1DC25168
	v_mfma_i32_16x16x32_i8 v[112:115], a[106:107], a[42:43], v[112:115]// 00000000382C: D3D70070 1DC2556A
	s_add_u32 s60, 0x80, s80                                   // 000000003834: 803C50FF 00000080
	s_cmp_lt_u32 s60, s81                                      // 00000000383C: BF0A513C
	s_cselect_b32 s83, s83, 0                                  // 000000003840: 85538053
	v_mfma_i32_16x16x32_i8 v[112:115], a[108:109], a[44:45], v[112:115]// 000000003844: D3D70070 1DC2596C
	v_mfma_i32_16x16x32_i8 v[112:115], a[110:111], a[46:47], v[112:115]// 00000000384C: D3D70070 1DC25D6E
	s_waitcnt vmcnt(12)                                        // 000000003854: BF8C0F7C
	v_mfma_i32_16x16x32_i8 v[116:119], a[112:113], a[0:1], v[116:119]// 000000003858: D3D70074 1DD20170
	v_mfma_i32_16x16x32_i8 v[116:119], a[114:115], a[2:3], v[116:119]// 000000003860: D3D70074 1DD20572
	buffer_load_dwordx4 a[96:99], v64, s[24:27], 0 offen       // 000000003868: E05C1000 80866040
	v_mfma_i32_16x16x32_i8 v[116:119], a[116:117], a[4:5], v[116:119]// 000000003870: D3D70074 1DD20974
	v_mfma_i32_16x16x32_i8 v[116:119], a[118:119], a[6:7], v[116:119]// 000000003878: D3D70074 1DD20D76
	ds_read_b128 a[48:51], v2 offset:12416                     // 000000003880: DBFE3080 30000002
	ds_read_b128 a[52:55], v2 offset:12480                     // 000000003888: DBFE30C0 34000002
	v_mfma_i32_16x16x32_i8 v[140:143], a[120:121], a[0:1], v[140:143]// 000000003890: D3D7008C 1E320178
	v_mfma_i32_16x16x32_i8 v[140:143], a[122:123], a[2:3], v[140:143]// 000000003898: D3D7008C 1E32057A
	buffer_load_dwordx4 a[100:103], v64, s[24:27], 0 offen offset:1024// 0000000038A0: E05C1400 80866440
	v_mfma_i32_16x16x32_i8 v[140:143], a[124:125], a[4:5], v[140:143]// 0000000038A8: D3D7008C 1E32097C
	v_mfma_i32_16x16x32_i8 v[140:143], a[126:127], a[6:7], v[140:143]// 0000000038B0: D3D7008C 1E320D7E
	ds_read_b128 a[56:59], v2 offset:12928                     // 0000000038B8: DBFE3280 38000002
	ds_read_b128 a[60:63], v2 offset:12992                     // 0000000038C0: DBFE32C0 3C000002
	v_mfma_i32_16x16x32_i8 v[120:123], a[112:113], a[8:9], v[120:123]// 0000000038C8: D3D70078 1DE21170
	v_mfma_i32_16x16x32_i8 v[120:123], a[114:115], a[10:11], v[120:123]// 0000000038D0: D3D70078 1DE21572
	buffer_load_dwordx4 a[104:107], v65, s[24:27], 0 offen     // 0000000038D8: E05C1000 80866841
	v_mfma_i32_16x16x32_i8 v[120:123], a[116:117], a[12:13], v[120:123]// 0000000038E0: D3D70078 1DE21974
	v_mfma_i32_16x16x32_i8 v[120:123], a[118:119], a[14:15], v[120:123]// 0000000038E8: D3D70078 1DE21D76
	ds_read_b128 a[64:67], v2 offset:13440                     // 0000000038F0: DBFE3480 40000002
	ds_read_b128 a[68:71], v2 offset:13504                     // 0000000038F8: DBFE34C0 44000002
	v_mfma_i32_16x16x32_i8 v[144:147], a[120:121], a[8:9], v[144:147]// 000000003900: D3D70090 1E421178
	v_mfma_i32_16x16x32_i8 v[144:147], a[122:123], a[10:11], v[144:147]// 000000003908: D3D70090 1E42157A
	buffer_load_dwordx4 a[108:111], v65, s[24:27], 0 offen offset:1024// 000000003910: E05C1400 80866C41
	v_mfma_i32_16x16x32_i8 v[144:147], a[124:125], a[12:13], v[144:147]// 000000003918: D3D70090 1E42197C
	v_mfma_i32_16x16x32_i8 v[144:147], a[126:127], a[14:15], v[144:147]// 000000003920: D3D70090 1E421D7E
	ds_read_b128 a[72:75], v2 offset:13952                     // 000000003928: DBFE3680 48000002
	ds_read_b128 a[76:79], v2 offset:14016                     // 000000003930: DBFE36C0 4C000002
	v_mfma_i32_16x16x32_i8 v[124:127], a[112:113], a[16:17], v[124:127]// 000000003938: D3D7007C 1DF22170
	v_mfma_i32_16x16x32_i8 v[124:127], a[114:115], a[18:19], v[124:127]// 000000003940: D3D7007C 1DF22572
	v_mfma_i32_16x16x32_i8 v[124:127], a[116:117], a[20:21], v[124:127]// 000000003948: D3D7007C 1DF22974
	v_mfma_i32_16x16x32_i8 v[124:127], a[118:119], a[22:23], v[124:127]// 000000003950: D3D7007C 1DF22D76
	ds_read_b128 a[80:83], v2 offset:14464                     // 000000003958: DBFE3880 50000002
	ds_read_b128 a[84:87], v2 offset:14528                     // 000000003960: DBFE38C0 54000002
	v_mfma_i32_16x16x32_i8 v[148:151], a[120:121], a[16:17], v[148:151]// 000000003968: D3D70094 1E522178
	v_mfma_i32_16x16x32_i8 v[148:151], a[122:123], a[18:19], v[148:151]// 000000003970: D3D70094 1E52257A
	v_mfma_i32_16x16x32_i8 v[148:151], a[124:125], a[20:21], v[148:151]// 000000003978: D3D70094 1E52297C
	v_mfma_i32_16x16x32_i8 v[148:151], a[126:127], a[22:23], v[148:151]// 000000003980: D3D70094 1E522D7E
	ds_read_b128 a[88:91], v2 offset:14976                     // 000000003988: DBFE3A80 58000002
	ds_read_b128 a[92:95], v2 offset:15040                     // 000000003990: DBFE3AC0 5C000002
	v_mfma_i32_16x16x32_i8 v[128:131], a[112:113], a[24:25], v[128:131]// 000000003998: D3D70080 1E023170
	v_mfma_i32_16x16x32_i8 v[128:131], a[114:115], a[26:27], v[128:131]// 0000000039A0: D3D70080 1E023572
	v_mfma_i32_16x16x32_i8 v[128:131], a[116:117], a[28:29], v[128:131]// 0000000039A8: D3D70080 1E023974
	v_mfma_i32_16x16x32_i8 v[128:131], a[118:119], a[30:31], v[128:131]// 0000000039B0: D3D70080 1E023D76
	v_mfma_i32_16x16x32_i8 v[152:155], a[120:121], a[24:25], v[152:155]// 0000000039B8: D3D70098 1E623178
	v_mfma_i32_16x16x32_i8 v[152:155], a[122:123], a[26:27], v[152:155]// 0000000039C0: D3D70098 1E62357A
	v_mfma_i32_16x16x32_i8 v[152:155], a[124:125], a[28:29], v[152:155]// 0000000039C8: D3D70098 1E62397C
	v_mfma_i32_16x16x32_i8 v[152:155], a[126:127], a[30:31], v[152:155]// 0000000039D0: D3D70098 1E623D7E
	v_mfma_i32_16x16x32_i8 v[132:135], a[112:113], a[32:33], v[132:135]// 0000000039D8: D3D70084 1E124170
	v_mfma_i32_16x16x32_i8 v[132:135], a[114:115], a[34:35], v[132:135]// 0000000039E0: D3D70084 1E124572
	v_mfma_i32_16x16x32_i8 v[132:135], a[116:117], a[36:37], v[132:135]// 0000000039E8: D3D70084 1E124974
	v_mfma_i32_16x16x32_i8 v[132:135], a[118:119], a[38:39], v[132:135]// 0000000039F0: D3D70084 1E124D76
	v_mfma_i32_16x16x32_i8 v[156:159], a[120:121], a[32:33], v[156:159]// 0000000039F8: D3D7009C 1E724178
	v_mfma_i32_16x16x32_i8 v[156:159], a[122:123], a[34:35], v[156:159]// 000000003A00: D3D7009C 1E72457A
	v_mfma_i32_16x16x32_i8 v[156:159], a[124:125], a[36:37], v[156:159]// 000000003A08: D3D7009C 1E72497C
	v_mfma_i32_16x16x32_i8 v[156:159], a[126:127], a[38:39], v[156:159]// 000000003A10: D3D7009C 1E724D7E
	v_mfma_i32_16x16x32_i8 v[136:139], a[112:113], a[40:41], v[136:139]// 000000003A18: D3D70088 1E225170
	v_mfma_i32_16x16x32_i8 v[136:139], a[114:115], a[42:43], v[136:139]// 000000003A20: D3D70088 1E225572
	v_mfma_i32_16x16x32_i8 v[136:139], a[116:117], a[44:45], v[136:139]// 000000003A28: D3D70088 1E225974
	s_add_u32 s60, 0x180, s80                                  // 000000003A30: 803C50FF 00000180
	s_cmp_lt_u32 s60, s81                                      // 000000003A38: BF0A513C
	s_cselect_b32 s57, s57, 0                                  // 000000003A3C: 85398039
	v_mfma_i32_16x16x32_i8 v[136:139], a[118:119], a[46:47], v[136:139]// 000000003A40: D3D70088 1E225D76
	s_add_u32 s60, 0x100, s80                                  // 000000003A48: 803C50FF 00000100
	s_cmp_lt_u32 s60, s81                                      // 000000003A50: BF0A513C
	s_cselect_b32 s58, s58, 0                                  // 000000003A54: 853A803A
	v_mfma_i32_16x16x32_i8 v[160:163], a[120:121], a[40:41], v[160:163]// 000000003A58: D3D700A0 1E825178
	s_add_u32 s24, s58, s24                                    // 000000003A60: 8018183A
	s_addc_u32 s25, 0, s25                                     // 000000003A64: 82191980
	v_mfma_i32_16x16x32_i8 v[160:163], a[122:123], a[42:43], v[160:163]// 000000003A68: D3D700A0 1E82557A
	s_add_u32 s20, s57, s20                                    // 000000003A70: 80141439
	s_addc_u32 s21, 0, s21                                     // 000000003A74: 82151580
	v_mfma_i32_16x16x32_i8 v[160:163], a[124:125], a[44:45], v[160:163]// 000000003A78: D3D700A0 1E82597C
	s_add_u32 s84, s83, s84                                    // 000000003A80: 80545453
	s_addc_u32 s85, 0, s85                                     // 000000003A84: 82555580
	v_mfma_i32_16x16x32_i8 v[160:163], a[126:127], a[46:47], v[160:163]// 000000003A88: D3D700A0 1E825D7E
	s_addk_i32 s80, 0x80                                       // 000000003A90: B7500080
	s_cmp_lt_i32 s80, s81                                      // 000000003A94: BF045150
	s_cbranch_scc0 label_0558                                  // 000000003A98: BF840131
	s_waitcnt vmcnt(2) lgkmcnt(0)                              // 000000003A9C: BF8C0072
	s_barrier                                                  // 000000003AA0: BF8A0000
	v_mfma_i32_16x16x32_i8 v[68:71], a[96:97], a[48:49], v[68:71]// 000000003AA4: D3D70044 1D126160
	v_mfma_i32_16x16x32_i8 v[68:71], a[98:99], a[50:51], v[68:71]// 000000003AAC: D3D70044 1D126562
	buffer_load_dwordx4 a[112:115], v64, s[84:87], 0 offen     // 000000003AB4: E05C1000 80957040
	v_mfma_i32_16x16x32_i8 v[68:71], a[100:101], a[52:53], v[68:71]// 000000003ABC: D3D70044 1D126964
	v_mfma_i32_16x16x32_i8 v[68:71], a[102:103], a[54:55], v[68:71]// 000000003AC4: D3D70044 1D126D66
	v_mfma_i32_16x16x32_i8 v[72:75], a[96:97], a[56:57], v[72:75]// 000000003ACC: D3D70048 1D227160
	v_mfma_i32_16x16x32_i8 v[72:75], a[98:99], a[58:59], v[72:75]// 000000003AD4: D3D70048 1D227562
	buffer_load_dwordx4 a[116:119], v64, s[84:87], 0 offen offset:1024// 000000003ADC: E05C1400 80957440
	v_mfma_i32_16x16x32_i8 v[72:75], a[100:101], a[60:61], v[72:75]// 000000003AE4: D3D70048 1D227964
	v_mfma_i32_16x16x32_i8 v[72:75], a[102:103], a[62:63], v[72:75]// 000000003AEC: D3D70048 1D227D66
	v_mfma_i32_16x16x32_i8 v[76:79], a[96:97], a[64:65], v[76:79]// 000000003AF4: D3D7004C 1D328160
	v_mfma_i32_16x16x32_i8 v[76:79], a[98:99], a[66:67], v[76:79]// 000000003AFC: D3D7004C 1D328562
	buffer_load_dwordx4 a[120:123], v65, s[84:87], 0 offen     // 000000003B04: E05C1000 80957841
	v_mfma_i32_16x16x32_i8 v[76:79], a[100:101], a[68:69], v[76:79]// 000000003B0C: D3D7004C 1D328964
	v_mfma_i32_16x16x32_i8 v[76:79], a[102:103], a[70:71], v[76:79]// 000000003B14: D3D7004C 1D328D66
	v_mfma_i32_16x16x32_i8 v[80:83], a[96:97], a[72:73], v[80:83]// 000000003B1C: D3D70050 1D429160
	v_mfma_i32_16x16x32_i8 v[80:83], a[98:99], a[74:75], v[80:83]// 000000003B24: D3D70050 1D429562
	buffer_load_dwordx4 a[124:127], v65, s[84:87], 0 offen offset:1024// 000000003B2C: E05C1400 80957C41
	buffer_load_dword v52, s[20:23], 0 offen lds               // 000000003B34: E0511000 80050034
	s_add_u32 m0, 0x100, s49                                   // 000000003B3C: 807C31FF 00000100
	v_mfma_i32_16x16x32_i8 v[80:83], a[100:101], a[76:77], v[80:83]// 000000003B44: D3D70050 1D429964
	v_mfma_i32_16x16x32_i8 v[80:83], a[102:103], a[78:79], v[80:83]// 000000003B4C: D3D70050 1D429D66
	buffer_load_dword v53, s[20:23], 0 offen lds               // 000000003B54: E0511000 80050035
	s_add_u32 m0, 0x200, s49                                   // 000000003B5C: 807C31FF 00000200
	v_mfma_i32_16x16x32_i8 v[84:87], a[96:97], a[80:81], v[84:87]// 000000003B64: D3D70054 1D52A160
	v_mfma_i32_16x16x32_i8 v[84:87], a[98:99], a[82:83], v[84:87]// 000000003B6C: D3D70054 1D52A562
	buffer_load_dword v54, s[20:23], 0 offen lds               // 000000003B74: E0511000 80050036
	s_add_u32 m0, 0x300, s49                                   // 000000003B7C: 807C31FF 00000300
	v_mfma_i32_16x16x32_i8 v[84:87], a[100:101], a[84:85], v[84:87]// 000000003B84: D3D70054 1D52A964
	v_mfma_i32_16x16x32_i8 v[84:87], a[102:103], a[86:87], v[84:87]// 000000003B8C: D3D70054 1D52AD66
	buffer_load_dword v55, s[20:23], 0 offen lds               // 000000003B94: E0511000 80050037
	s_add_u32 m0, 0x400, s49                                   // 000000003B9C: 807C31FF 00000400
	v_mfma_i32_16x16x32_i8 v[88:91], a[96:97], a[88:89], v[88:91]// 000000003BA4: D3D70058 1D62B160
	v_mfma_i32_16x16x32_i8 v[88:91], a[98:99], a[90:91], v[88:91]// 000000003BAC: D3D70058 1D62B562
	buffer_load_dword v56, s[20:23], 0 offen lds               // 000000003BB4: E0511000 80050038
	s_add_u32 m0, 0x500, s49                                   // 000000003BBC: 807C31FF 00000500
	v_mfma_i32_16x16x32_i8 v[88:91], a[100:101], a[92:93], v[88:91]// 000000003BC4: D3D70058 1D62B964
	v_mfma_i32_16x16x32_i8 v[88:91], a[102:103], a[94:95], v[88:91]// 000000003BCC: D3D70058 1D62BD66
	buffer_load_dword v57, s[20:23], 0 offen lds               // 000000003BD4: E0511000 80050039
	s_add_u32 m0, 0x600, s49                                   // 000000003BDC: 807C31FF 00000600
	s_waitcnt vmcnt(10)                                        // 000000003BE4: BF8C0F7A
	v_mfma_i32_16x16x32_i8 v[92:95], a[104:105], a[48:49], v[92:95]// 000000003BE8: D3D7005C 1D726168
	v_mfma_i32_16x16x32_i8 v[92:95], a[106:107], a[50:51], v[92:95]// 000000003BF0: D3D7005C 1D72656A
	buffer_load_dword v58, s[20:23], 0 offen lds               // 000000003BF8: E0511000 8005003A
	s_add_u32 m0, 0x700, s49                                   // 000000003C00: 807C31FF 00000700
	v_mfma_i32_16x16x32_i8 v[92:95], a[108:109], a[52:53], v[92:95]// 000000003C08: D3D7005C 1D72696C
	v_mfma_i32_16x16x32_i8 v[92:95], a[110:111], a[54:55], v[92:95]// 000000003C10: D3D7005C 1D726D6E
	buffer_load_dword v59, s[20:23], 0 offen lds               // 000000003C18: E0511000 8005003B
	s_add_u32 m0, 0x800, s49                                   // 000000003C20: 807C31FF 00000800
	v_mfma_i32_16x16x32_i8 v[96:99], a[104:105], a[56:57], v[96:99]// 000000003C28: D3D70060 1D827168
	v_mfma_i32_16x16x32_i8 v[96:99], a[106:107], a[58:59], v[96:99]// 000000003C30: D3D70060 1D82756A
	buffer_load_dword v60, s[20:23], 0 offen lds               // 000000003C38: E0511000 8005003C
	s_add_u32 m0, 0x900, s49                                   // 000000003C40: 807C31FF 00000900
	v_mfma_i32_16x16x32_i8 v[96:99], a[108:109], a[60:61], v[96:99]// 000000003C48: D3D70060 1D82796C
	v_mfma_i32_16x16x32_i8 v[96:99], a[110:111], a[62:63], v[96:99]// 000000003C50: D3D70060 1D827D6E
	buffer_load_dword v61, s[20:23], 0 offen lds               // 000000003C58: E0511000 8005003D
	s_add_u32 m0, 0xa00, s49                                   // 000000003C60: 807C31FF 00000A00
	v_mfma_i32_16x16x32_i8 v[100:103], a[104:105], a[64:65], v[100:103]// 000000003C68: D3D70064 1D928168
	v_mfma_i32_16x16x32_i8 v[100:103], a[106:107], a[66:67], v[100:103]// 000000003C70: D3D70064 1D92856A
	buffer_load_dword v62, s[20:23], 0 offen lds               // 000000003C78: E0511000 8005003E
	s_add_u32 m0, 0xb00, s49                                   // 000000003C80: 807C31FF 00000B00
	v_mfma_i32_16x16x32_i8 v[100:103], a[108:109], a[68:69], v[100:103]// 000000003C88: D3D70064 1D92896C
	v_mfma_i32_16x16x32_i8 v[100:103], a[110:111], a[70:71], v[100:103]// 000000003C90: D3D70064 1D928D6E
	buffer_load_dword v63, s[20:23], 0 offen lds               // 000000003C98: E0511000 8005003F
	s_add_u32 m0, 0, s48                                       // 000000003CA0: 807C3080
	v_mfma_i32_16x16x32_i8 v[104:107], a[104:105], a[72:73], v[104:107]// 000000003CA4: D3D70068 1DA29168
	v_mfma_i32_16x16x32_i8 v[104:107], a[106:107], a[74:75], v[104:107]// 000000003CAC: D3D70068 1DA2956A
	v_mfma_i32_16x16x32_i8 v[104:107], a[108:109], a[76:77], v[104:107]// 000000003CB4: D3D70068 1DA2996C
	v_mfma_i32_16x16x32_i8 v[104:107], a[110:111], a[78:79], v[104:107]// 000000003CBC: D3D70068 1DA29D6E
	v_mfma_i32_16x16x32_i8 v[108:111], a[104:105], a[80:81], v[108:111]// 000000003CC4: D3D7006C 1DB2A168
	v_mfma_i32_16x16x32_i8 v[108:111], a[106:107], a[82:83], v[108:111]// 000000003CCC: D3D7006C 1DB2A56A
	v_mfma_i32_16x16x32_i8 v[108:111], a[108:109], a[84:85], v[108:111]// 000000003CD4: D3D7006C 1DB2A96C
	v_mfma_i32_16x16x32_i8 v[108:111], a[110:111], a[86:87], v[108:111]// 000000003CDC: D3D7006C 1DB2AD6E
	v_mfma_i32_16x16x32_i8 v[112:115], a[104:105], a[88:89], v[112:115]// 000000003CE4: D3D70070 1DC2B168
	v_mfma_i32_16x16x32_i8 v[112:115], a[106:107], a[90:91], v[112:115]// 000000003CEC: D3D70070 1DC2B56A
	s_add_u32 s60, 0x80, s80                                   // 000000003CF4: 803C50FF 00000080
	s_cmp_lt_u32 s60, s81                                      // 000000003CFC: BF0A513C
	s_cselect_b32 s83, s83, 0                                  // 000000003D00: 85538053
	v_mfma_i32_16x16x32_i8 v[112:115], a[108:109], a[92:93], v[112:115]// 000000003D04: D3D70070 1DC2B96C
	v_mfma_i32_16x16x32_i8 v[112:115], a[110:111], a[94:95], v[112:115]// 000000003D0C: D3D70070 1DC2BD6E
	s_waitcnt vmcnt(12)                                        // 000000003D14: BF8C0F7C
	v_mfma_i32_16x16x32_i8 v[116:119], a[112:113], a[48:49], v[116:119]// 000000003D18: D3D70074 1DD26170
	v_mfma_i32_16x16x32_i8 v[116:119], a[114:115], a[50:51], v[116:119]// 000000003D20: D3D70074 1DD26572
	buffer_load_dwordx4 a[96:99], v64, s[24:27], 0 offen       // 000000003D28: E05C1000 80866040
	v_mfma_i32_16x16x32_i8 v[116:119], a[116:117], a[52:53], v[116:119]// 000000003D30: D3D70074 1DD26974
	v_mfma_i32_16x16x32_i8 v[116:119], a[118:119], a[54:55], v[116:119]// 000000003D38: D3D70074 1DD26D76
	ds_read_b128 a[0:3], v2                                    // 000000003D40: DBFE0000 00000002
	ds_read_b128 a[4:7], v2 offset:64                          // 000000003D48: DBFE0040 04000002
	v_mfma_i32_16x16x32_i8 v[140:143], a[120:121], a[48:49], v[140:143]// 000000003D50: D3D7008C 1E326178
	v_mfma_i32_16x16x32_i8 v[140:143], a[122:123], a[50:51], v[140:143]// 000000003D58: D3D7008C 1E32657A
	buffer_load_dwordx4 a[100:103], v64, s[24:27], 0 offen offset:1024// 000000003D60: E05C1400 80866440
	v_mfma_i32_16x16x32_i8 v[140:143], a[124:125], a[52:53], v[140:143]// 000000003D68: D3D7008C 1E32697C
	v_mfma_i32_16x16x32_i8 v[140:143], a[126:127], a[54:55], v[140:143]// 000000003D70: D3D7008C 1E326D7E
	ds_read_b128 a[8:11], v2 offset:512                        // 000000003D78: DBFE0200 08000002
	ds_read_b128 a[12:15], v2 offset:576                       // 000000003D80: DBFE0240 0C000002
	v_mfma_i32_16x16x32_i8 v[120:123], a[112:113], a[56:57], v[120:123]// 000000003D88: D3D70078 1DE27170
	v_mfma_i32_16x16x32_i8 v[120:123], a[114:115], a[58:59], v[120:123]// 000000003D90: D3D70078 1DE27572
	buffer_load_dwordx4 a[104:107], v65, s[24:27], 0 offen     // 000000003D98: E05C1000 80866841
	v_mfma_i32_16x16x32_i8 v[120:123], a[116:117], a[60:61], v[120:123]// 000000003DA0: D3D70078 1DE27974
	v_mfma_i32_16x16x32_i8 v[120:123], a[118:119], a[62:63], v[120:123]// 000000003DA8: D3D70078 1DE27D76
	ds_read_b128 a[16:19], v2 offset:1024                      // 000000003DB0: DBFE0400 10000002
	ds_read_b128 a[20:23], v2 offset:1088                      // 000000003DB8: DBFE0440 14000002
	v_mfma_i32_16x16x32_i8 v[144:147], a[120:121], a[56:57], v[144:147]// 000000003DC0: D3D70090 1E427178
	v_mfma_i32_16x16x32_i8 v[144:147], a[122:123], a[58:59], v[144:147]// 000000003DC8: D3D70090 1E42757A
	buffer_load_dwordx4 a[108:111], v65, s[24:27], 0 offen offset:1024// 000000003DD0: E05C1400 80866C41
	v_mfma_i32_16x16x32_i8 v[144:147], a[124:125], a[60:61], v[144:147]// 000000003DD8: D3D70090 1E42797C
	v_mfma_i32_16x16x32_i8 v[144:147], a[126:127], a[62:63], v[144:147]// 000000003DE0: D3D70090 1E427D7E
	ds_read_b128 a[24:27], v2 offset:1536                      // 000000003DE8: DBFE0600 18000002
	ds_read_b128 a[28:31], v2 offset:1600                      // 000000003DF0: DBFE0640 1C000002
	v_mfma_i32_16x16x32_i8 v[124:127], a[112:113], a[64:65], v[124:127]// 000000003DF8: D3D7007C 1DF28170
	v_mfma_i32_16x16x32_i8 v[124:127], a[114:115], a[66:67], v[124:127]// 000000003E00: D3D7007C 1DF28572
	v_mfma_i32_16x16x32_i8 v[124:127], a[116:117], a[68:69], v[124:127]// 000000003E08: D3D7007C 1DF28974
	v_mfma_i32_16x16x32_i8 v[124:127], a[118:119], a[70:71], v[124:127]// 000000003E10: D3D7007C 1DF28D76
	ds_read_b128 a[32:35], v2 offset:2048                      // 000000003E18: DBFE0800 20000002
	ds_read_b128 a[36:39], v2 offset:2112                      // 000000003E20: DBFE0840 24000002
	v_mfma_i32_16x16x32_i8 v[148:151], a[120:121], a[64:65], v[148:151]// 000000003E28: D3D70094 1E528178
	v_mfma_i32_16x16x32_i8 v[148:151], a[122:123], a[66:67], v[148:151]// 000000003E30: D3D70094 1E52857A
	v_mfma_i32_16x16x32_i8 v[148:151], a[124:125], a[68:69], v[148:151]// 000000003E38: D3D70094 1E52897C
	v_mfma_i32_16x16x32_i8 v[148:151], a[126:127], a[70:71], v[148:151]// 000000003E40: D3D70094 1E528D7E
	ds_read_b128 a[40:43], v2 offset:2560                      // 000000003E48: DBFE0A00 28000002
	ds_read_b128 a[44:47], v2 offset:2624                      // 000000003E50: DBFE0A40 2C000002
	v_mfma_i32_16x16x32_i8 v[128:131], a[112:113], a[72:73], v[128:131]// 000000003E58: D3D70080 1E029170
	v_mfma_i32_16x16x32_i8 v[128:131], a[114:115], a[74:75], v[128:131]// 000000003E60: D3D70080 1E029572
	v_mfma_i32_16x16x32_i8 v[128:131], a[116:117], a[76:77], v[128:131]// 000000003E68: D3D70080 1E029974
	v_mfma_i32_16x16x32_i8 v[128:131], a[118:119], a[78:79], v[128:131]// 000000003E70: D3D70080 1E029D76
	v_mfma_i32_16x16x32_i8 v[152:155], a[120:121], a[72:73], v[152:155]// 000000003E78: D3D70098 1E629178
	v_mfma_i32_16x16x32_i8 v[152:155], a[122:123], a[74:75], v[152:155]// 000000003E80: D3D70098 1E62957A
	v_mfma_i32_16x16x32_i8 v[152:155], a[124:125], a[76:77], v[152:155]// 000000003E88: D3D70098 1E62997C
	v_mfma_i32_16x16x32_i8 v[152:155], a[126:127], a[78:79], v[152:155]// 000000003E90: D3D70098 1E629D7E
	v_mfma_i32_16x16x32_i8 v[132:135], a[112:113], a[80:81], v[132:135]// 000000003E98: D3D70084 1E12A170
	v_mfma_i32_16x16x32_i8 v[132:135], a[114:115], a[82:83], v[132:135]// 000000003EA0: D3D70084 1E12A572
	v_mfma_i32_16x16x32_i8 v[132:135], a[116:117], a[84:85], v[132:135]// 000000003EA8: D3D70084 1E12A974
	v_mfma_i32_16x16x32_i8 v[132:135], a[118:119], a[86:87], v[132:135]// 000000003EB0: D3D70084 1E12AD76
	v_mfma_i32_16x16x32_i8 v[156:159], a[120:121], a[80:81], v[156:159]// 000000003EB8: D3D7009C 1E72A178
	v_mfma_i32_16x16x32_i8 v[156:159], a[122:123], a[82:83], v[156:159]// 000000003EC0: D3D7009C 1E72A57A
	v_mfma_i32_16x16x32_i8 v[156:159], a[124:125], a[84:85], v[156:159]// 000000003EC8: D3D7009C 1E72A97C
	v_mfma_i32_16x16x32_i8 v[156:159], a[126:127], a[86:87], v[156:159]// 000000003ED0: D3D7009C 1E72AD7E
	v_mfma_i32_16x16x32_i8 v[136:139], a[112:113], a[88:89], v[136:139]// 000000003ED8: D3D70088 1E22B170
	v_mfma_i32_16x16x32_i8 v[136:139], a[114:115], a[90:91], v[136:139]// 000000003EE0: D3D70088 1E22B572
	v_mfma_i32_16x16x32_i8 v[136:139], a[116:117], a[92:93], v[136:139]// 000000003EE8: D3D70088 1E22B974
	s_add_u32 s60, 0x180, s80                                  // 000000003EF0: 803C50FF 00000180
	s_cmp_lt_u32 s60, s81                                      // 000000003EF8: BF0A513C
	s_cselect_b32 s57, s57, 0                                  // 000000003EFC: 85398039
	v_mfma_i32_16x16x32_i8 v[136:139], a[118:119], a[94:95], v[136:139]// 000000003F00: D3D70088 1E22BD76
	s_add_u32 s60, 0x100, s80                                  // 000000003F08: 803C50FF 00000100
	s_cmp_lt_u32 s60, s81                                      // 000000003F10: BF0A513C
	s_cselect_b32 s58, s58, 0                                  // 000000003F14: 853A803A
	v_mfma_i32_16x16x32_i8 v[160:163], a[120:121], a[88:89], v[160:163]// 000000003F18: D3D700A0 1E82B178
	s_add_u32 s24, s58, s24                                    // 000000003F20: 8018183A
	s_addc_u32 s25, 0, s25                                     // 000000003F24: 82191980
	v_mfma_i32_16x16x32_i8 v[160:163], a[122:123], a[90:91], v[160:163]// 000000003F28: D3D700A0 1E82B57A
	s_add_u32 s20, s57, s20                                    // 000000003F30: 80141439
	s_addc_u32 s21, 0, s21                                     // 000000003F34: 82151580
	v_mfma_i32_16x16x32_i8 v[160:163], a[124:125], a[92:93], v[160:163]// 000000003F38: D3D700A0 1E82B97C
	s_add_u32 s84, s83, s84                                    // 000000003F40: 80545453
	s_addc_u32 s85, 0, s85                                     // 000000003F44: 82555580
	v_mfma_i32_16x16x32_i8 v[160:163], a[126:127], a[94:95], v[160:163]// 000000003F48: D3D700A0 1E82BD7E
	s_addk_i32 s80, 0x80                                       // 000000003F50: B7500080
	s_cmp_lt_i32 s80, s81                                      // 000000003F54: BF045150
	s_cbranch_scc0 label_0558                                  // 000000003F58: BF840001
	s_branch label_02F7                                        // 000000003F5C: BF82FD9F

0000000000003f60 <label_0558>:
	v_cvt_f32_i32_e32 v68, v68                                 // 000000003F60: 7E880B44
	v_cvt_f32_i32_e32 v69, v69                                 // 000000003F64: 7E8A0B45
	v_cvt_f32_i32_e32 v70, v70                                 // 000000003F68: 7E8C0B46
	v_cvt_f32_i32_e32 v71, v71                                 // 000000003F6C: 7E8E0B47
	v_mul_f32_dpp v68, v24, v68 row_newbcast:0 row_mask:0xf bank_mask:0xf// 000000003F70: 0A8888FA FF015018
	v_mul_f32_dpp v69, v24, v69 row_newbcast:1 row_mask:0xf bank_mask:0xf// 000000003F78: 0A8A8AFA FF015118
	v_mul_f32_dpp v70, v24, v70 row_newbcast:2 row_mask:0xf bank_mask:0xf// 000000003F80: 0A8C8CFA FF015218
	v_mul_f32_dpp v71, v24, v71 row_newbcast:3 row_mask:0xf bank_mask:0xf// 000000003F88: 0A8E8EFA FF015318
	v_cvt_f32_i32_e32 v72, v72                                 // 000000003F90: 7E900B48
	v_cvt_f32_i32_e32 v73, v73                                 // 000000003F94: 7E920B49
	v_cvt_f32_i32_e32 v74, v74                                 // 000000003F98: 7E940B4A
	v_cvt_f32_i32_e32 v75, v75                                 // 000000003F9C: 7E960B4B
	v_mul_f32_dpp v72, v24, v72 row_newbcast:0 row_mask:0xf bank_mask:0xf// 000000003FA0: 0A9090FA FF015018
	v_mul_f32_dpp v73, v24, v73 row_newbcast:1 row_mask:0xf bank_mask:0xf// 000000003FA8: 0A9292FA FF015118
	v_mul_f32_dpp v74, v24, v74 row_newbcast:2 row_mask:0xf bank_mask:0xf// 000000003FB0: 0A9494FA FF015218
	v_mul_f32_dpp v75, v24, v75 row_newbcast:3 row_mask:0xf bank_mask:0xf// 000000003FB8: 0A9696FA FF015318
	v_cvt_f32_i32_e32 v76, v76                                 // 000000003FC0: 7E980B4C
	v_cvt_f32_i32_e32 v77, v77                                 // 000000003FC4: 7E9A0B4D
	v_cvt_f32_i32_e32 v78, v78                                 // 000000003FC8: 7E9C0B4E
	v_cvt_f32_i32_e32 v79, v79                                 // 000000003FCC: 7E9E0B4F
	v_mul_f32_dpp v76, v24, v76 row_newbcast:0 row_mask:0xf bank_mask:0xf// 000000003FD0: 0A9898FA FF015018
	v_mul_f32_dpp v77, v24, v77 row_newbcast:1 row_mask:0xf bank_mask:0xf// 000000003FD8: 0A9A9AFA FF015118
	v_mul_f32_dpp v78, v24, v78 row_newbcast:2 row_mask:0xf bank_mask:0xf// 000000003FE0: 0A9C9CFA FF015218
	v_mul_f32_dpp v79, v24, v79 row_newbcast:3 row_mask:0xf bank_mask:0xf// 000000003FE8: 0A9E9EFA FF015318
	v_cvt_f32_i32_e32 v80, v80                                 // 000000003FF0: 7EA00B50
	v_cvt_f32_i32_e32 v81, v81                                 // 000000003FF4: 7EA20B51
	v_cvt_f32_i32_e32 v82, v82                                 // 000000003FF8: 7EA40B52
	v_cvt_f32_i32_e32 v83, v83                                 // 000000003FFC: 7EA60B53
	v_mul_f32_dpp v80, v24, v80 row_newbcast:0 row_mask:0xf bank_mask:0xf// 000000004000: 0AA0A0FA FF015018
	v_mul_f32_dpp v81, v24, v81 row_newbcast:1 row_mask:0xf bank_mask:0xf// 000000004008: 0AA2A2FA FF015118
	v_mul_f32_dpp v82, v24, v82 row_newbcast:2 row_mask:0xf bank_mask:0xf// 000000004010: 0AA4A4FA FF015218
	v_mul_f32_dpp v83, v24, v83 row_newbcast:3 row_mask:0xf bank_mask:0xf// 000000004018: 0AA6A6FA FF015318
	v_cvt_f32_i32_e32 v84, v84                                 // 000000004020: 7EA80B54
	v_cvt_f32_i32_e32 v85, v85                                 // 000000004024: 7EAA0B55
	v_cvt_f32_i32_e32 v86, v86                                 // 000000004028: 7EAC0B56
	v_cvt_f32_i32_e32 v87, v87                                 // 00000000402C: 7EAE0B57
	v_mul_f32_dpp v84, v24, v84 row_newbcast:0 row_mask:0xf bank_mask:0xf// 000000004030: 0AA8A8FA FF015018
	v_mul_f32_dpp v85, v24, v85 row_newbcast:1 row_mask:0xf bank_mask:0xf// 000000004038: 0AAAAAFA FF015118
	v_mul_f32_dpp v86, v24, v86 row_newbcast:2 row_mask:0xf bank_mask:0xf// 000000004040: 0AACACFA FF015218
	v_mul_f32_dpp v87, v24, v87 row_newbcast:3 row_mask:0xf bank_mask:0xf// 000000004048: 0AAEAEFA FF015318
	v_cvt_f32_i32_e32 v88, v88                                 // 000000004050: 7EB00B58
	v_cvt_f32_i32_e32 v89, v89                                 // 000000004054: 7EB20B59
	v_cvt_f32_i32_e32 v90, v90                                 // 000000004058: 7EB40B5A
	v_cvt_f32_i32_e32 v91, v91                                 // 00000000405C: 7EB60B5B
	v_mul_f32_dpp v88, v24, v88 row_newbcast:0 row_mask:0xf bank_mask:0xf// 000000004060: 0AB0B0FA FF015018
	v_mul_f32_dpp v89, v24, v89 row_newbcast:1 row_mask:0xf bank_mask:0xf// 000000004068: 0AB2B2FA FF015118
	v_mul_f32_dpp v90, v24, v90 row_newbcast:2 row_mask:0xf bank_mask:0xf// 000000004070: 0AB4B4FA FF015218
	v_mul_f32_dpp v91, v24, v91 row_newbcast:3 row_mask:0xf bank_mask:0xf// 000000004078: 0AB6B6FA FF015318
	v_cvt_f32_i32_e32 v92, v92                                 // 000000004080: 7EB80B5C
	v_cvt_f32_i32_e32 v93, v93                                 // 000000004084: 7EBA0B5D
	v_cvt_f32_i32_e32 v94, v94                                 // 000000004088: 7EBC0B5E
	v_cvt_f32_i32_e32 v95, v95                                 // 00000000408C: 7EBE0B5F
	v_mul_f32_dpp v92, v24, v92 row_newbcast:4 row_mask:0xf bank_mask:0xf// 000000004090: 0AB8B8FA FF015418
	v_mul_f32_dpp v93, v24, v93 row_newbcast:5 row_mask:0xf bank_mask:0xf// 000000004098: 0ABABAFA FF015518
	v_mul_f32_dpp v94, v24, v94 row_newbcast:6 row_mask:0xf bank_mask:0xf// 0000000040A0: 0ABCBCFA FF015618
	v_mul_f32_dpp v95, v24, v95 row_newbcast:7 row_mask:0xf bank_mask:0xf// 0000000040A8: 0ABEBEFA FF015718
	v_cvt_f32_i32_e32 v96, v96                                 // 0000000040B0: 7EC00B60
	v_cvt_f32_i32_e32 v97, v97                                 // 0000000040B4: 7EC20B61
	v_cvt_f32_i32_e32 v98, v98                                 // 0000000040B8: 7EC40B62
	v_cvt_f32_i32_e32 v99, v99                                 // 0000000040BC: 7EC60B63
	v_mul_f32_dpp v96, v24, v96 row_newbcast:4 row_mask:0xf bank_mask:0xf// 0000000040C0: 0AC0C0FA FF015418
	v_mul_f32_dpp v97, v24, v97 row_newbcast:5 row_mask:0xf bank_mask:0xf// 0000000040C8: 0AC2C2FA FF015518
	v_mul_f32_dpp v98, v24, v98 row_newbcast:6 row_mask:0xf bank_mask:0xf// 0000000040D0: 0AC4C4FA FF015618
	v_mul_f32_dpp v99, v24, v99 row_newbcast:7 row_mask:0xf bank_mask:0xf// 0000000040D8: 0AC6C6FA FF015718
	v_cvt_f32_i32_e32 v100, v100                               // 0000000040E0: 7EC80B64
	v_cvt_f32_i32_e32 v101, v101                               // 0000000040E4: 7ECA0B65
	v_cvt_f32_i32_e32 v102, v102                               // 0000000040E8: 7ECC0B66
	v_cvt_f32_i32_e32 v103, v103                               // 0000000040EC: 7ECE0B67
	v_mul_f32_dpp v100, v24, v100 row_newbcast:4 row_mask:0xf bank_mask:0xf// 0000000040F0: 0AC8C8FA FF015418
	v_mul_f32_dpp v101, v24, v101 row_newbcast:5 row_mask:0xf bank_mask:0xf// 0000000040F8: 0ACACAFA FF015518
	v_mul_f32_dpp v102, v24, v102 row_newbcast:6 row_mask:0xf bank_mask:0xf// 000000004100: 0ACCCCFA FF015618
	v_mul_f32_dpp v103, v24, v103 row_newbcast:7 row_mask:0xf bank_mask:0xf// 000000004108: 0ACECEFA FF015718
	v_cvt_f32_i32_e32 v104, v104                               // 000000004110: 7ED00B68
	v_cvt_f32_i32_e32 v105, v105                               // 000000004114: 7ED20B69
	v_cvt_f32_i32_e32 v106, v106                               // 000000004118: 7ED40B6A
	v_cvt_f32_i32_e32 v107, v107                               // 00000000411C: 7ED60B6B
	v_mul_f32_dpp v104, v24, v104 row_newbcast:4 row_mask:0xf bank_mask:0xf// 000000004120: 0AD0D0FA FF015418
	v_mul_f32_dpp v105, v24, v105 row_newbcast:5 row_mask:0xf bank_mask:0xf// 000000004128: 0AD2D2FA FF015518
	v_mul_f32_dpp v106, v24, v106 row_newbcast:6 row_mask:0xf bank_mask:0xf// 000000004130: 0AD4D4FA FF015618
	v_mul_f32_dpp v107, v24, v107 row_newbcast:7 row_mask:0xf bank_mask:0xf// 000000004138: 0AD6D6FA FF015718
	v_cvt_f32_i32_e32 v108, v108                               // 000000004140: 7ED80B6C
	v_cvt_f32_i32_e32 v109, v109                               // 000000004144: 7EDA0B6D
	v_cvt_f32_i32_e32 v110, v110                               // 000000004148: 7EDC0B6E
	v_cvt_f32_i32_e32 v111, v111                               // 00000000414C: 7EDE0B6F
	v_mul_f32_dpp v108, v24, v108 row_newbcast:4 row_mask:0xf bank_mask:0xf// 000000004150: 0AD8D8FA FF015418
	v_mul_f32_dpp v109, v24, v109 row_newbcast:5 row_mask:0xf bank_mask:0xf// 000000004158: 0ADADAFA FF015518
	v_mul_f32_dpp v110, v24, v110 row_newbcast:6 row_mask:0xf bank_mask:0xf// 000000004160: 0ADCDCFA FF015618
	v_mul_f32_dpp v111, v24, v111 row_newbcast:7 row_mask:0xf bank_mask:0xf// 000000004168: 0ADEDEFA FF015718
	v_cvt_f32_i32_e32 v112, v112                               // 000000004170: 7EE00B70
	v_cvt_f32_i32_e32 v113, v113                               // 000000004174: 7EE20B71
	v_cvt_f32_i32_e32 v114, v114                               // 000000004178: 7EE40B72
	v_cvt_f32_i32_e32 v115, v115                               // 00000000417C: 7EE60B73
	v_mul_f32_dpp v112, v24, v112 row_newbcast:4 row_mask:0xf bank_mask:0xf// 000000004180: 0AE0E0FA FF015418
	v_mul_f32_dpp v113, v24, v113 row_newbcast:5 row_mask:0xf bank_mask:0xf// 000000004188: 0AE2E2FA FF015518
	v_mul_f32_dpp v114, v24, v114 row_newbcast:6 row_mask:0xf bank_mask:0xf// 000000004190: 0AE4E4FA FF015618
	v_mul_f32_dpp v115, v24, v115 row_newbcast:7 row_mask:0xf bank_mask:0xf// 000000004198: 0AE6E6FA FF015718
	v_cvt_f32_i32_e32 v116, v116                               // 0000000041A0: 7EE80B74
	v_cvt_f32_i32_e32 v117, v117                               // 0000000041A4: 7EEA0B75
	v_cvt_f32_i32_e32 v118, v118                               // 0000000041A8: 7EEC0B76
	v_cvt_f32_i32_e32 v119, v119                               // 0000000041AC: 7EEE0B77
	v_mul_f32_dpp v116, v26, v116 row_newbcast:0 row_mask:0xf bank_mask:0xf// 0000000041B0: 0AE8E8FA FF01501A
	v_mul_f32_dpp v117, v26, v117 row_newbcast:1 row_mask:0xf bank_mask:0xf// 0000000041B8: 0AEAEAFA FF01511A
	v_mul_f32_dpp v118, v26, v118 row_newbcast:2 row_mask:0xf bank_mask:0xf// 0000000041C0: 0AECECFA FF01521A
	v_mul_f32_dpp v119, v26, v119 row_newbcast:3 row_mask:0xf bank_mask:0xf// 0000000041C8: 0AEEEEFA FF01531A
	v_cvt_f32_i32_e32 v120, v120                               // 0000000041D0: 7EF00B78
	v_cvt_f32_i32_e32 v121, v121                               // 0000000041D4: 7EF20B79
	v_cvt_f32_i32_e32 v122, v122                               // 0000000041D8: 7EF40B7A
	v_cvt_f32_i32_e32 v123, v123                               // 0000000041DC: 7EF60B7B
	v_mul_f32_dpp v120, v26, v120 row_newbcast:0 row_mask:0xf bank_mask:0xf// 0000000041E0: 0AF0F0FA FF01501A
	v_mul_f32_dpp v121, v26, v121 row_newbcast:1 row_mask:0xf bank_mask:0xf// 0000000041E8: 0AF2F2FA FF01511A
	v_mul_f32_dpp v122, v26, v122 row_newbcast:2 row_mask:0xf bank_mask:0xf// 0000000041F0: 0AF4F4FA FF01521A
	v_mul_f32_dpp v123, v26, v123 row_newbcast:3 row_mask:0xf bank_mask:0xf// 0000000041F8: 0AF6F6FA FF01531A
	v_cvt_f32_i32_e32 v124, v124                               // 000000004200: 7EF80B7C
	v_cvt_f32_i32_e32 v125, v125                               // 000000004204: 7EFA0B7D
	v_cvt_f32_i32_e32 v126, v126                               // 000000004208: 7EFC0B7E
	v_cvt_f32_i32_e32 v127, v127                               // 00000000420C: 7EFE0B7F
	v_mul_f32_dpp v124, v26, v124 row_newbcast:0 row_mask:0xf bank_mask:0xf// 000000004210: 0AF8F8FA FF01501A
	v_mul_f32_dpp v125, v26, v125 row_newbcast:1 row_mask:0xf bank_mask:0xf// 000000004218: 0AFAFAFA FF01511A
	v_mul_f32_dpp v126, v26, v126 row_newbcast:2 row_mask:0xf bank_mask:0xf// 000000004220: 0AFCFCFA FF01521A
	v_mul_f32_dpp v127, v26, v127 row_newbcast:3 row_mask:0xf bank_mask:0xf// 000000004228: 0AFEFEFA FF01531A
	v_cvt_f32_i32_e32 v128, v128                               // 000000004230: 7F000B80
	v_cvt_f32_i32_e32 v129, v129                               // 000000004234: 7F020B81
	v_cvt_f32_i32_e32 v130, v130                               // 000000004238: 7F040B82
	v_cvt_f32_i32_e32 v131, v131                               // 00000000423C: 7F060B83
	v_mul_f32_dpp v128, v26, v128 row_newbcast:0 row_mask:0xf bank_mask:0xf// 000000004240: 0B0100FA FF01501A
	v_mul_f32_dpp v129, v26, v129 row_newbcast:1 row_mask:0xf bank_mask:0xf// 000000004248: 0B0302FA FF01511A
	v_mul_f32_dpp v130, v26, v130 row_newbcast:2 row_mask:0xf bank_mask:0xf// 000000004250: 0B0504FA FF01521A
	v_mul_f32_dpp v131, v26, v131 row_newbcast:3 row_mask:0xf bank_mask:0xf// 000000004258: 0B0706FA FF01531A
	v_cvt_f32_i32_e32 v132, v132                               // 000000004260: 7F080B84
	v_cvt_f32_i32_e32 v133, v133                               // 000000004264: 7F0A0B85
	v_cvt_f32_i32_e32 v134, v134                               // 000000004268: 7F0C0B86
	v_cvt_f32_i32_e32 v135, v135                               // 00000000426C: 7F0E0B87
	v_mul_f32_dpp v132, v26, v132 row_newbcast:0 row_mask:0xf bank_mask:0xf// 000000004270: 0B0908FA FF01501A
	v_mul_f32_dpp v133, v26, v133 row_newbcast:1 row_mask:0xf bank_mask:0xf// 000000004278: 0B0B0AFA FF01511A
	v_mul_f32_dpp v134, v26, v134 row_newbcast:2 row_mask:0xf bank_mask:0xf// 000000004280: 0B0D0CFA FF01521A
	v_mul_f32_dpp v135, v26, v135 row_newbcast:3 row_mask:0xf bank_mask:0xf// 000000004288: 0B0F0EFA FF01531A
	v_cvt_f32_i32_e32 v136, v136                               // 000000004290: 7F100B88
	v_cvt_f32_i32_e32 v137, v137                               // 000000004294: 7F120B89
	v_cvt_f32_i32_e32 v138, v138                               // 000000004298: 7F140B8A
	v_cvt_f32_i32_e32 v139, v139                               // 00000000429C: 7F160B8B
	v_mul_f32_dpp v136, v26, v136 row_newbcast:0 row_mask:0xf bank_mask:0xf// 0000000042A0: 0B1110FA FF01501A
	v_mul_f32_dpp v137, v26, v137 row_newbcast:1 row_mask:0xf bank_mask:0xf// 0000000042A8: 0B1312FA FF01511A
	v_mul_f32_dpp v138, v26, v138 row_newbcast:2 row_mask:0xf bank_mask:0xf// 0000000042B0: 0B1514FA FF01521A
	v_mul_f32_dpp v139, v26, v139 row_newbcast:3 row_mask:0xf bank_mask:0xf// 0000000042B8: 0B1716FA FF01531A
	v_cvt_f32_i32_e32 v140, v140                               // 0000000042C0: 7F180B8C
	v_cvt_f32_i32_e32 v141, v141                               // 0000000042C4: 7F1A0B8D
	v_cvt_f32_i32_e32 v142, v142                               // 0000000042C8: 7F1C0B8E
	v_cvt_f32_i32_e32 v143, v143                               // 0000000042CC: 7F1E0B8F
	v_mul_f32_dpp v140, v26, v140 row_newbcast:4 row_mask:0xf bank_mask:0xf// 0000000042D0: 0B1918FA FF01541A
	v_mul_f32_dpp v141, v26, v141 row_newbcast:5 row_mask:0xf bank_mask:0xf// 0000000042D8: 0B1B1AFA FF01551A
	v_mul_f32_dpp v142, v26, v142 row_newbcast:6 row_mask:0xf bank_mask:0xf// 0000000042E0: 0B1D1CFA FF01561A
	v_mul_f32_dpp v143, v26, v143 row_newbcast:7 row_mask:0xf bank_mask:0xf// 0000000042E8: 0B1F1EFA FF01571A
	v_cvt_f32_i32_e32 v144, v144                               // 0000000042F0: 7F200B90
	v_cvt_f32_i32_e32 v145, v145                               // 0000000042F4: 7F220B91
	v_cvt_f32_i32_e32 v146, v146                               // 0000000042F8: 7F240B92
	v_cvt_f32_i32_e32 v147, v147                               // 0000000042FC: 7F260B93
	v_mul_f32_dpp v144, v26, v144 row_newbcast:4 row_mask:0xf bank_mask:0xf// 000000004300: 0B2120FA FF01541A
	v_mul_f32_dpp v145, v26, v145 row_newbcast:5 row_mask:0xf bank_mask:0xf// 000000004308: 0B2322FA FF01551A
	v_mul_f32_dpp v146, v26, v146 row_newbcast:6 row_mask:0xf bank_mask:0xf// 000000004310: 0B2524FA FF01561A
	v_mul_f32_dpp v147, v26, v147 row_newbcast:7 row_mask:0xf bank_mask:0xf// 000000004318: 0B2726FA FF01571A
	v_cvt_f32_i32_e32 v148, v148                               // 000000004320: 7F280B94
	v_cvt_f32_i32_e32 v149, v149                               // 000000004324: 7F2A0B95
	v_cvt_f32_i32_e32 v150, v150                               // 000000004328: 7F2C0B96
	v_cvt_f32_i32_e32 v151, v151                               // 00000000432C: 7F2E0B97
	v_mul_f32_dpp v148, v26, v148 row_newbcast:4 row_mask:0xf bank_mask:0xf// 000000004330: 0B2928FA FF01541A
	v_mul_f32_dpp v149, v26, v149 row_newbcast:5 row_mask:0xf bank_mask:0xf// 000000004338: 0B2B2AFA FF01551A
	v_mul_f32_dpp v150, v26, v150 row_newbcast:6 row_mask:0xf bank_mask:0xf// 000000004340: 0B2D2CFA FF01561A
	v_mul_f32_dpp v151, v26, v151 row_newbcast:7 row_mask:0xf bank_mask:0xf// 000000004348: 0B2F2EFA FF01571A
	v_cvt_f32_i32_e32 v152, v152                               // 000000004350: 7F300B98
	v_cvt_f32_i32_e32 v153, v153                               // 000000004354: 7F320B99
	v_cvt_f32_i32_e32 v154, v154                               // 000000004358: 7F340B9A
	v_cvt_f32_i32_e32 v155, v155                               // 00000000435C: 7F360B9B
	v_mul_f32_dpp v152, v26, v152 row_newbcast:4 row_mask:0xf bank_mask:0xf// 000000004360: 0B3130FA FF01541A
	v_mul_f32_dpp v153, v26, v153 row_newbcast:5 row_mask:0xf bank_mask:0xf// 000000004368: 0B3332FA FF01551A
	v_mul_f32_dpp v154, v26, v154 row_newbcast:6 row_mask:0xf bank_mask:0xf// 000000004370: 0B3534FA FF01561A
	v_mul_f32_dpp v155, v26, v155 row_newbcast:7 row_mask:0xf bank_mask:0xf// 000000004378: 0B3736FA FF01571A
	v_cvt_f32_i32_e32 v156, v156                               // 000000004380: 7F380B9C
	v_cvt_f32_i32_e32 v157, v157                               // 000000004384: 7F3A0B9D
	v_cvt_f32_i32_e32 v158, v158                               // 000000004388: 7F3C0B9E
	v_cvt_f32_i32_e32 v159, v159                               // 00000000438C: 7F3E0B9F
	v_mul_f32_dpp v156, v26, v156 row_newbcast:4 row_mask:0xf bank_mask:0xf// 000000004390: 0B3938FA FF01541A
	v_mul_f32_dpp v157, v26, v157 row_newbcast:5 row_mask:0xf bank_mask:0xf// 000000004398: 0B3B3AFA FF01551A
	v_mul_f32_dpp v158, v26, v158 row_newbcast:6 row_mask:0xf bank_mask:0xf// 0000000043A0: 0B3D3CFA FF01561A
	v_mul_f32_dpp v159, v26, v159 row_newbcast:7 row_mask:0xf bank_mask:0xf// 0000000043A8: 0B3F3EFA FF01571A
	v_cvt_f32_i32_e32 v160, v160                               // 0000000043B0: 7F400BA0
	v_cvt_f32_i32_e32 v161, v161                               // 0000000043B4: 7F420BA1
	v_cvt_f32_i32_e32 v162, v162                               // 0000000043B8: 7F440BA2
	v_cvt_f32_i32_e32 v163, v163                               // 0000000043BC: 7F460BA3
	v_mul_f32_dpp v160, v26, v160 row_newbcast:4 row_mask:0xf bank_mask:0xf// 0000000043C0: 0B4140FA FF01541A
	v_mul_f32_dpp v161, v26, v161 row_newbcast:5 row_mask:0xf bank_mask:0xf// 0000000043C8: 0B4342FA FF01551A
	v_mul_f32_dpp v162, v26, v162 row_newbcast:6 row_mask:0xf bank_mask:0xf// 0000000043D0: 0B4544FA FF01561A
	v_mul_f32_dpp v163, v26, v163 row_newbcast:7 row_mask:0xf bank_mask:0xf// 0000000043D8: 0B4746FA FF01571A
	v_mov_b32_e32 v4, v34                                      // 0000000043E0: 7E080322
	v_mov_b32_e32 v5, v4                                       // 0000000043E4: 7E0A0304
	v_pk_mul_f32 v[68:69], v[4:5], v[68:69]                    // 0000000043E8: D3B14044 18028904
	v_pk_mul_f32 v[116:117], v[4:5], v[116:117]                // 0000000043F0: D3B14074 1802E904
	v_pk_mul_f32 v[70:71], v[4:5], v[70:71]                    // 0000000043F8: D3B14046 18028D04
	v_pk_mul_f32 v[118:119], v[4:5], v[118:119]                // 000000004400: D3B14076 1802ED04
	v_pk_mul_f32 v[92:93], v[4:5], v[92:93]                    // 000000004408: D3B1405C 1802B904
	v_pk_mul_f32 v[140:141], v[4:5], v[140:141]                // 000000004410: D3B1408C 18031904
	v_pk_mul_f32 v[94:95], v[4:5], v[94:95]                    // 000000004418: D3B1405E 1802BD04
	v_pk_mul_f32 v[142:143], v[4:5], v[142:143]                // 000000004420: D3B1408E 18031D04
	v_mov_b32_e32 v4, v35                                      // 000000004428: 7E080323
	v_mov_b32_e32 v5, v4                                       // 00000000442C: 7E0A0304
	v_pk_mul_f32 v[72:73], v[4:5], v[72:73]                    // 000000004430: D3B14048 18029104
	v_pk_mul_f32 v[120:121], v[4:5], v[120:121]                // 000000004438: D3B14078 1802F104
	v_pk_mul_f32 v[74:75], v[4:5], v[74:75]                    // 000000004440: D3B1404A 18029504
	v_pk_mul_f32 v[122:123], v[4:5], v[122:123]                // 000000004448: D3B1407A 1802F504
	v_pk_mul_f32 v[96:97], v[4:5], v[96:97]                    // 000000004450: D3B14060 1802C104
	v_pk_mul_f32 v[144:145], v[4:5], v[144:145]                // 000000004458: D3B14090 18032104
	v_pk_mul_f32 v[98:99], v[4:5], v[98:99]                    // 000000004460: D3B14062 1802C504
	v_pk_mul_f32 v[146:147], v[4:5], v[146:147]                // 000000004468: D3B14092 18032504
	v_mov_b32_e32 v4, v36                                      // 000000004470: 7E080324
	v_mov_b32_e32 v5, v4                                       // 000000004474: 7E0A0304
	v_pk_mul_f32 v[76:77], v[4:5], v[76:77]                    // 000000004478: D3B1404C 18029904
	v_pk_mul_f32 v[124:125], v[4:5], v[124:125]                // 000000004480: D3B1407C 1802F904
	v_pk_mul_f32 v[78:79], v[4:5], v[78:79]                    // 000000004488: D3B1404E 18029D04
	v_pk_mul_f32 v[126:127], v[4:5], v[126:127]                // 000000004490: D3B1407E 1802FD04
	v_pk_mul_f32 v[100:101], v[4:5], v[100:101]                // 000000004498: D3B14064 1802C904
	v_pk_mul_f32 v[148:149], v[4:5], v[148:149]                // 0000000044A0: D3B14094 18032904
	v_pk_mul_f32 v[102:103], v[4:5], v[102:103]                // 0000000044A8: D3B14066 1802CD04
	v_pk_mul_f32 v[150:151], v[4:5], v[150:151]                // 0000000044B0: D3B14096 18032D04
	v_mov_b32_e32 v4, v37                                      // 0000000044B8: 7E080325
	v_mov_b32_e32 v5, v4                                       // 0000000044BC: 7E0A0304
	v_pk_mul_f32 v[80:81], v[4:5], v[80:81]                    // 0000000044C0: D3B14050 1802A104
	v_pk_mul_f32 v[128:129], v[4:5], v[128:129]                // 0000000044C8: D3B14080 18030104
	v_pk_mul_f32 v[82:83], v[4:5], v[82:83]                    // 0000000044D0: D3B14052 1802A504
	v_pk_mul_f32 v[130:131], v[4:5], v[130:131]                // 0000000044D8: D3B14082 18030504
	v_pk_mul_f32 v[104:105], v[4:5], v[104:105]                // 0000000044E0: D3B14068 1802D104
	v_pk_mul_f32 v[152:153], v[4:5], v[152:153]                // 0000000044E8: D3B14098 18033104
	v_pk_mul_f32 v[106:107], v[4:5], v[106:107]                // 0000000044F0: D3B1406A 1802D504
	v_pk_mul_f32 v[154:155], v[4:5], v[154:155]                // 0000000044F8: D3B1409A 18033504
	v_mov_b32_e32 v4, v38                                      // 000000004500: 7E080326
	v_mov_b32_e32 v5, v4                                       // 000000004504: 7E0A0304
	v_pk_mul_f32 v[84:85], v[4:5], v[84:85]                    // 000000004508: D3B14054 1802A904
	v_pk_mul_f32 v[132:133], v[4:5], v[132:133]                // 000000004510: D3B14084 18030904
	v_pk_mul_f32 v[86:87], v[4:5], v[86:87]                    // 000000004518: D3B14056 1802AD04
	v_pk_mul_f32 v[134:135], v[4:5], v[134:135]                // 000000004520: D3B14086 18030D04
	v_pk_mul_f32 v[108:109], v[4:5], v[108:109]                // 000000004528: D3B1406C 1802D904
	v_pk_mul_f32 v[156:157], v[4:5], v[156:157]                // 000000004530: D3B1409C 18033904
	v_pk_mul_f32 v[110:111], v[4:5], v[110:111]                // 000000004538: D3B1406E 1802DD04
	v_pk_mul_f32 v[158:159], v[4:5], v[158:159]                // 000000004540: D3B1409E 18033D04
	v_mov_b32_e32 v4, v39                                      // 000000004548: 7E080327
	v_mov_b32_e32 v5, v4                                       // 00000000454C: 7E0A0304
	v_pk_mul_f32 v[88:89], v[4:5], v[88:89]                    // 000000004550: D3B14058 1802B104
	v_pk_mul_f32 v[136:137], v[4:5], v[136:137]                // 000000004558: D3B14088 18031104
	v_pk_mul_f32 v[90:91], v[4:5], v[90:91]                    // 000000004560: D3B1405A 1802B504
	v_pk_mul_f32 v[138:139], v[4:5], v[138:139]                // 000000004568: D3B1408A 18031504
	v_pk_mul_f32 v[112:113], v[4:5], v[112:113]                // 000000004570: D3B14070 1802E104
	v_pk_mul_f32 v[160:161], v[4:5], v[160:161]                // 000000004578: D3B140A0 18034104
	v_pk_mul_f32 v[114:115], v[4:5], v[114:115]                // 000000004580: D3B14072 1802E504
	v_pk_mul_f32 v[162:163], v[4:5], v[162:163]                // 000000004588: D3B140A2 18034504
	s_cmp_eq_u32 s88, 0                                        // 000000004590: BF068058
	s_cbranch_scc0 label_0DF7                                  // 000000004594: BF840711
	s_cmp_eq_u32 s89, 0                                        // 000000004598: BF068059
	s_cbranch_scc1 label_08CD                                  // 00000000459C: BF8501E5
	v_mov_b32_e32 v8, v1                                       // 0000000045A0: 7E100301
	v_mov_b32_e32 v9, v1                                       // 0000000045A4: 7E120301
	s_mov_b32 s60, s6                                          // 0000000045A8: BEBC0006
	s_mov_b32 s61, s6                                          // 0000000045AC: BEBD0006
	v_pk_mul_f32 v[4:5], v[68:69], v[68:69]                    // 0000000045B0: D3B14004 18028944
	v_pk_mul_f32 v[6:7], v[70:71], v[70:71]                    // 0000000045B8: D3B14006 18028D46
	v_pk_fma_f32 v[4:5], v[4:5], s[78:79], v[8:9]              // 0000000045C0: D3B04004 1C209D04
	v_pk_fma_f32 v[6:7], v[6:7], s[78:79], v[8:9]              // 0000000045C8: D3B04006 1C209D06
	v_pk_mul_f32 v[4:5], v[4:5], v[68:69]                      // 0000000045D0: D3B14004 18028904
	v_pk_mul_f32 v[6:7], v[6:7], v[70:71]                      // 0000000045D8: D3B14006 18028D06
	v_pk_mul_f32 v[4:5], v[4:5], s[60:61]                      // 0000000045E0: D3B14004 18007904
	v_pk_mul_f32 v[6:7], v[6:7], s[60:61]                      // 0000000045E8: D3B14006 18007906
	v_exp_f32_e32 v4, v4                                       // 0000000045F0: 7E084104
	v_exp_f32_e32 v5, v5                                       // 0000000045F4: 7E0A4105
	v_exp_f32_e32 v6, v6                                       // 0000000045F8: 7E0C4106
	v_exp_f32_e32 v7, v7                                       // 0000000045FC: 7E0E4107
	v_add_f32_e64 v4, v4, 1.0                                  // 000000004600: D1010004 0001E504
	v_add_f32_e64 v5, v5, 1.0                                  // 000000004608: D1010005 0001E505
	v_add_f32_e64 v6, v6, 1.0                                  // 000000004610: D1010006 0001E506
	v_add_f32_e64 v7, v7, 1.0                                  // 000000004618: D1010007 0001E507
	v_rcp_f32_e32 v4, v4                                       // 000000004620: 7E084504
	v_rcp_f32_e32 v5, v5                                       // 000000004624: 7E0A4505
	v_rcp_f32_e32 v6, v6                                       // 000000004628: 7E0C4506
	v_rcp_f32_e32 v7, v7                                       // 00000000462C: 7E0E4507
	v_mul_f32_e32 v68, v68, v4                                 // 000000004630: 0A880944
	v_mul_f32_e32 v69, v69, v5                                 // 000000004634: 0A8A0B45
	v_mul_f32_e32 v70, v70, v6                                 // 000000004638: 0A8C0D46
	v_mul_f32_e32 v71, v71, v7                                 // 00000000463C: 0A8E0F47
	v_mul_f32_e32 v68, v68, v116                               // 000000004640: 0A88E944
	v_mul_f32_e32 v69, v69, v117                               // 000000004644: 0A8AEB45
	v_mul_f32_e32 v70, v70, v118                               // 000000004648: 0A8CED46
	v_mul_f32_e32 v71, v71, v119                               // 00000000464C: 0A8EEF47
	v_pk_mul_f32 v[4:5], v[72:73], v[72:73]                    // 000000004650: D3B14004 18029148
	v_pk_mul_f32 v[6:7], v[74:75], v[74:75]                    // 000000004658: D3B14006 1802954A
	v_pk_fma_f32 v[4:5], v[4:5], s[78:79], v[8:9]              // 000000004660: D3B04004 1C209D04
	v_pk_fma_f32 v[6:7], v[6:7], s[78:79], v[8:9]              // 000000004668: D3B04006 1C209D06
	v_pk_mul_f32 v[4:5], v[4:5], v[72:73]                      // 000000004670: D3B14004 18029104
	v_pk_mul_f32 v[6:7], v[6:7], v[74:75]                      // 000000004678: D3B14006 18029506
	v_pk_mul_f32 v[4:5], v[4:5], s[60:61]                      // 000000004680: D3B14004 18007904
	v_pk_mul_f32 v[6:7], v[6:7], s[60:61]                      // 000000004688: D3B14006 18007906
	v_exp_f32_e32 v4, v4                                       // 000000004690: 7E084104
	v_exp_f32_e32 v5, v5                                       // 000000004694: 7E0A4105
	v_exp_f32_e32 v6, v6                                       // 000000004698: 7E0C4106
	v_exp_f32_e32 v7, v7                                       // 00000000469C: 7E0E4107
	v_add_f32_e64 v4, v4, 1.0                                  // 0000000046A0: D1010004 0001E504
	v_add_f32_e64 v5, v5, 1.0                                  // 0000000046A8: D1010005 0001E505
	v_add_f32_e64 v6, v6, 1.0                                  // 0000000046B0: D1010006 0001E506
	v_add_f32_e64 v7, v7, 1.0                                  // 0000000046B8: D1010007 0001E507
	v_rcp_f32_e32 v4, v4                                       // 0000000046C0: 7E084504
	v_rcp_f32_e32 v5, v5                                       // 0000000046C4: 7E0A4505
	v_rcp_f32_e32 v6, v6                                       // 0000000046C8: 7E0C4506
	v_rcp_f32_e32 v7, v7                                       // 0000000046CC: 7E0E4507
	v_mul_f32_e32 v72, v72, v4                                 // 0000000046D0: 0A900948
	v_mul_f32_e32 v73, v73, v5                                 // 0000000046D4: 0A920B49
	v_mul_f32_e32 v74, v74, v6                                 // 0000000046D8: 0A940D4A
	v_mul_f32_e32 v75, v75, v7                                 // 0000000046DC: 0A960F4B
	v_mul_f32_e32 v72, v72, v120                               // 0000000046E0: 0A90F148
	v_mul_f32_e32 v73, v73, v121                               // 0000000046E4: 0A92F349
	v_mul_f32_e32 v74, v74, v122                               // 0000000046E8: 0A94F54A
	v_mul_f32_e32 v75, v75, v123                               // 0000000046EC: 0A96F74B
	v_pk_mul_f32 v[4:5], v[76:77], v[76:77]                    // 0000000046F0: D3B14004 1802994C
	v_pk_mul_f32 v[6:7], v[78:79], v[78:79]                    // 0000000046F8: D3B14006 18029D4E
	v_pk_fma_f32 v[4:5], v[4:5], s[78:79], v[8:9]              // 000000004700: D3B04004 1C209D04
	v_pk_fma_f32 v[6:7], v[6:7], s[78:79], v[8:9]              // 000000004708: D3B04006 1C209D06
	v_pk_mul_f32 v[4:5], v[4:5], v[76:77]                      // 000000004710: D3B14004 18029904
	v_pk_mul_f32 v[6:7], v[6:7], v[78:79]                      // 000000004718: D3B14006 18029D06
	v_pk_mul_f32 v[4:5], v[4:5], s[60:61]                      // 000000004720: D3B14004 18007904
	v_pk_mul_f32 v[6:7], v[6:7], s[60:61]                      // 000000004728: D3B14006 18007906
	v_exp_f32_e32 v4, v4                                       // 000000004730: 7E084104
	v_exp_f32_e32 v5, v5                                       // 000000004734: 7E0A4105
	v_exp_f32_e32 v6, v6                                       // 000000004738: 7E0C4106
	v_exp_f32_e32 v7, v7                                       // 00000000473C: 7E0E4107
	v_add_f32_e64 v4, v4, 1.0                                  // 000000004740: D1010004 0001E504
	v_add_f32_e64 v5, v5, 1.0                                  // 000000004748: D1010005 0001E505
	v_add_f32_e64 v6, v6, 1.0                                  // 000000004750: D1010006 0001E506
	v_add_f32_e64 v7, v7, 1.0                                  // 000000004758: D1010007 0001E507
	v_rcp_f32_e32 v4, v4                                       // 000000004760: 7E084504
	v_rcp_f32_e32 v5, v5                                       // 000000004764: 7E0A4505
	v_rcp_f32_e32 v6, v6                                       // 000000004768: 7E0C4506
	v_rcp_f32_e32 v7, v7                                       // 00000000476C: 7E0E4507
	v_mul_f32_e32 v76, v76, v4                                 // 000000004770: 0A98094C
	v_mul_f32_e32 v77, v77, v5                                 // 000000004774: 0A9A0B4D
	v_mul_f32_e32 v78, v78, v6                                 // 000000004778: 0A9C0D4E
	v_mul_f32_e32 v79, v79, v7                                 // 00000000477C: 0A9E0F4F
	v_mul_f32_e32 v76, v76, v124                               // 000000004780: 0A98F94C
	v_mul_f32_e32 v77, v77, v125                               // 000000004784: 0A9AFB4D
	v_mul_f32_e32 v78, v78, v126                               // 000000004788: 0A9CFD4E
	v_mul_f32_e32 v79, v79, v127                               // 00000000478C: 0A9EFF4F
	v_pk_mul_f32 v[4:5], v[80:81], v[80:81]                    // 000000004790: D3B14004 1802A150
	v_pk_mul_f32 v[6:7], v[82:83], v[82:83]                    // 000000004798: D3B14006 1802A552
	v_pk_fma_f32 v[4:5], v[4:5], s[78:79], v[8:9]              // 0000000047A0: D3B04004 1C209D04
	v_pk_fma_f32 v[6:7], v[6:7], s[78:79], v[8:9]              // 0000000047A8: D3B04006 1C209D06
	v_pk_mul_f32 v[4:5], v[4:5], v[80:81]                      // 0000000047B0: D3B14004 1802A104
	v_pk_mul_f32 v[6:7], v[6:7], v[82:83]                      // 0000000047B8: D3B14006 1802A506
	v_pk_mul_f32 v[4:5], v[4:5], s[60:61]                      // 0000000047C0: D3B14004 18007904
	v_pk_mul_f32 v[6:7], v[6:7], s[60:61]                      // 0000000047C8: D3B14006 18007906
	v_exp_f32_e32 v4, v4                                       // 0000000047D0: 7E084104
	v_exp_f32_e32 v5, v5                                       // 0000000047D4: 7E0A4105
	v_exp_f32_e32 v6, v6                                       // 0000000047D8: 7E0C4106
	v_exp_f32_e32 v7, v7                                       // 0000000047DC: 7E0E4107
	v_add_f32_e64 v4, v4, 1.0                                  // 0000000047E0: D1010004 0001E504
	v_add_f32_e64 v5, v5, 1.0                                  // 0000000047E8: D1010005 0001E505
	v_add_f32_e64 v6, v6, 1.0                                  // 0000000047F0: D1010006 0001E506
	v_add_f32_e64 v7, v7, 1.0                                  // 0000000047F8: D1010007 0001E507
	v_rcp_f32_e32 v4, v4                                       // 000000004800: 7E084504
	v_rcp_f32_e32 v5, v5                                       // 000000004804: 7E0A4505
	v_rcp_f32_e32 v6, v6                                       // 000000004808: 7E0C4506
	v_rcp_f32_e32 v7, v7                                       // 00000000480C: 7E0E4507
	v_mul_f32_e32 v80, v80, v4                                 // 000000004810: 0AA00950
	v_mul_f32_e32 v81, v81, v5                                 // 000000004814: 0AA20B51
	v_mul_f32_e32 v82, v82, v6                                 // 000000004818: 0AA40D52
	v_mul_f32_e32 v83, v83, v7                                 // 00000000481C: 0AA60F53
	v_mul_f32_e32 v80, v80, v128                               // 000000004820: 0AA10150
	v_mul_f32_e32 v81, v81, v129                               // 000000004824: 0AA30351
	v_mul_f32_e32 v82, v82, v130                               // 000000004828: 0AA50552
	v_mul_f32_e32 v83, v83, v131                               // 00000000482C: 0AA70753
	v_pk_mul_f32 v[4:5], v[84:85], v[84:85]                    // 000000004830: D3B14004 1802A954
	v_pk_mul_f32 v[6:7], v[86:87], v[86:87]                    // 000000004838: D3B14006 1802AD56
	v_pk_fma_f32 v[4:5], v[4:5], s[78:79], v[8:9]              // 000000004840: D3B04004 1C209D04
	v_pk_fma_f32 v[6:7], v[6:7], s[78:79], v[8:9]              // 000000004848: D3B04006 1C209D06
	v_pk_mul_f32 v[4:5], v[4:5], v[84:85]                      // 000000004850: D3B14004 1802A904
	v_pk_mul_f32 v[6:7], v[6:7], v[86:87]                      // 000000004858: D3B14006 1802AD06
	v_pk_mul_f32 v[4:5], v[4:5], s[60:61]                      // 000000004860: D3B14004 18007904
	v_pk_mul_f32 v[6:7], v[6:7], s[60:61]                      // 000000004868: D3B14006 18007906
	v_exp_f32_e32 v4, v4                                       // 000000004870: 7E084104
	v_exp_f32_e32 v5, v5                                       // 000000004874: 7E0A4105
	v_exp_f32_e32 v6, v6                                       // 000000004878: 7E0C4106
	v_exp_f32_e32 v7, v7                                       // 00000000487C: 7E0E4107
	v_add_f32_e64 v4, v4, 1.0                                  // 000000004880: D1010004 0001E504
	v_add_f32_e64 v5, v5, 1.0                                  // 000000004888: D1010005 0001E505
	v_add_f32_e64 v6, v6, 1.0                                  // 000000004890: D1010006 0001E506
	v_add_f32_e64 v7, v7, 1.0                                  // 000000004898: D1010007 0001E507
	v_rcp_f32_e32 v4, v4                                       // 0000000048A0: 7E084504
	v_rcp_f32_e32 v5, v5                                       // 0000000048A4: 7E0A4505
	v_rcp_f32_e32 v6, v6                                       // 0000000048A8: 7E0C4506
	v_rcp_f32_e32 v7, v7                                       // 0000000048AC: 7E0E4507
	v_mul_f32_e32 v84, v84, v4                                 // 0000000048B0: 0AA80954
	v_mul_f32_e32 v85, v85, v5                                 // 0000000048B4: 0AAA0B55
	v_mul_f32_e32 v86, v86, v6                                 // 0000000048B8: 0AAC0D56
	v_mul_f32_e32 v87, v87, v7                                 // 0000000048BC: 0AAE0F57
	v_mul_f32_e32 v84, v84, v132                               // 0000000048C0: 0AA90954
	v_mul_f32_e32 v85, v85, v133                               // 0000000048C4: 0AAB0B55
	v_mul_f32_e32 v86, v86, v134                               // 0000000048C8: 0AAD0D56
	v_mul_f32_e32 v87, v87, v135                               // 0000000048CC: 0AAF0F57
	v_pk_mul_f32 v[4:5], v[88:89], v[88:89]                    // 0000000048D0: D3B14004 1802B158
	v_pk_mul_f32 v[6:7], v[90:91], v[90:91]                    // 0000000048D8: D3B14006 1802B55A
	v_pk_fma_f32 v[4:5], v[4:5], s[78:79], v[8:9]              // 0000000048E0: D3B04004 1C209D04
	v_pk_fma_f32 v[6:7], v[6:7], s[78:79], v[8:9]              // 0000000048E8: D3B04006 1C209D06
	v_pk_mul_f32 v[4:5], v[4:5], v[88:89]                      // 0000000048F0: D3B14004 1802B104
	v_pk_mul_f32 v[6:7], v[6:7], v[90:91]                      // 0000000048F8: D3B14006 1802B506
	v_pk_mul_f32 v[4:5], v[4:5], s[60:61]                      // 000000004900: D3B14004 18007904
	v_pk_mul_f32 v[6:7], v[6:7], s[60:61]                      // 000000004908: D3B14006 18007906
	v_exp_f32_e32 v4, v4                                       // 000000004910: 7E084104
	v_exp_f32_e32 v5, v5                                       // 000000004914: 7E0A4105
	v_exp_f32_e32 v6, v6                                       // 000000004918: 7E0C4106
	v_exp_f32_e32 v7, v7                                       // 00000000491C: 7E0E4107
	v_add_f32_e64 v4, v4, 1.0                                  // 000000004920: D1010004 0001E504
	v_add_f32_e64 v5, v5, 1.0                                  // 000000004928: D1010005 0001E505
	v_add_f32_e64 v6, v6, 1.0                                  // 000000004930: D1010006 0001E506
	v_add_f32_e64 v7, v7, 1.0                                  // 000000004938: D1010007 0001E507
	v_rcp_f32_e32 v4, v4                                       // 000000004940: 7E084504
	v_rcp_f32_e32 v5, v5                                       // 000000004944: 7E0A4505
	v_rcp_f32_e32 v6, v6                                       // 000000004948: 7E0C4506
	v_rcp_f32_e32 v7, v7                                       // 00000000494C: 7E0E4507
	v_mul_f32_e32 v88, v88, v4                                 // 000000004950: 0AB00958
	v_mul_f32_e32 v89, v89, v5                                 // 000000004954: 0AB20B59
	v_mul_f32_e32 v90, v90, v6                                 // 000000004958: 0AB40D5A
	v_mul_f32_e32 v91, v91, v7                                 // 00000000495C: 0AB60F5B
	v_mul_f32_e32 v88, v88, v136                               // 000000004960: 0AB11158
	v_mul_f32_e32 v89, v89, v137                               // 000000004964: 0AB31359
	v_mul_f32_e32 v90, v90, v138                               // 000000004968: 0AB5155A
	v_mul_f32_e32 v91, v91, v139                               // 00000000496C: 0AB7175B
	v_pk_mul_f32 v[4:5], v[92:93], v[92:93]                    // 000000004970: D3B14004 1802B95C
	v_pk_mul_f32 v[6:7], v[94:95], v[94:95]                    // 000000004978: D3B14006 1802BD5E
	v_pk_fma_f32 v[4:5], v[4:5], s[78:79], v[8:9]              // 000000004980: D3B04004 1C209D04
	v_pk_fma_f32 v[6:7], v[6:7], s[78:79], v[8:9]              // 000000004988: D3B04006 1C209D06
	v_pk_mul_f32 v[4:5], v[4:5], v[92:93]                      // 000000004990: D3B14004 1802B904
	v_pk_mul_f32 v[6:7], v[6:7], v[94:95]                      // 000000004998: D3B14006 1802BD06
	v_pk_mul_f32 v[4:5], v[4:5], s[60:61]                      // 0000000049A0: D3B14004 18007904
	v_pk_mul_f32 v[6:7], v[6:7], s[60:61]                      // 0000000049A8: D3B14006 18007906
	v_exp_f32_e32 v4, v4                                       // 0000000049B0: 7E084104
	v_exp_f32_e32 v5, v5                                       // 0000000049B4: 7E0A4105
	v_exp_f32_e32 v6, v6                                       // 0000000049B8: 7E0C4106
	v_exp_f32_e32 v7, v7                                       // 0000000049BC: 7E0E4107
	v_add_f32_e64 v4, v4, 1.0                                  // 0000000049C0: D1010004 0001E504
	v_add_f32_e64 v5, v5, 1.0                                  // 0000000049C8: D1010005 0001E505
	v_add_f32_e64 v6, v6, 1.0                                  // 0000000049D0: D1010006 0001E506
	v_add_f32_e64 v7, v7, 1.0                                  // 0000000049D8: D1010007 0001E507
	v_rcp_f32_e32 v4, v4                                       // 0000000049E0: 7E084504
	v_rcp_f32_e32 v5, v5                                       // 0000000049E4: 7E0A4505
	v_rcp_f32_e32 v6, v6                                       // 0000000049E8: 7E0C4506
	v_rcp_f32_e32 v7, v7                                       // 0000000049EC: 7E0E4507
	v_mul_f32_e32 v92, v92, v4                                 // 0000000049F0: 0AB8095C
	v_mul_f32_e32 v93, v93, v5                                 // 0000000049F4: 0ABA0B5D
	v_mul_f32_e32 v94, v94, v6                                 // 0000000049F8: 0ABC0D5E
	v_mul_f32_e32 v95, v95, v7                                 // 0000000049FC: 0ABE0F5F
	v_mul_f32_e32 v92, v92, v140                               // 000000004A00: 0AB9195C
	v_mul_f32_e32 v93, v93, v141                               // 000000004A04: 0ABB1B5D
	v_mul_f32_e32 v94, v94, v142                               // 000000004A08: 0ABD1D5E
	v_mul_f32_e32 v95, v95, v143                               // 000000004A0C: 0ABF1F5F
	v_pk_mul_f32 v[4:5], v[96:97], v[96:97]                    // 000000004A10: D3B14004 1802C160
	v_pk_mul_f32 v[6:7], v[98:99], v[98:99]                    // 000000004A18: D3B14006 1802C562
	v_pk_fma_f32 v[4:5], v[4:5], s[78:79], v[8:9]              // 000000004A20: D3B04004 1C209D04
	v_pk_fma_f32 v[6:7], v[6:7], s[78:79], v[8:9]              // 000000004A28: D3B04006 1C209D06
	v_pk_mul_f32 v[4:5], v[4:5], v[96:97]                      // 000000004A30: D3B14004 1802C104
	v_pk_mul_f32 v[6:7], v[6:7], v[98:99]                      // 000000004A38: D3B14006 1802C506
	v_pk_mul_f32 v[4:5], v[4:5], s[60:61]                      // 000000004A40: D3B14004 18007904
	v_pk_mul_f32 v[6:7], v[6:7], s[60:61]                      // 000000004A48: D3B14006 18007906
	v_exp_f32_e32 v4, v4                                       // 000000004A50: 7E084104
	v_exp_f32_e32 v5, v5                                       // 000000004A54: 7E0A4105
	v_exp_f32_e32 v6, v6                                       // 000000004A58: 7E0C4106
	v_exp_f32_e32 v7, v7                                       // 000000004A5C: 7E0E4107
	v_add_f32_e64 v4, v4, 1.0                                  // 000000004A60: D1010004 0001E504
	v_add_f32_e64 v5, v5, 1.0                                  // 000000004A68: D1010005 0001E505
	v_add_f32_e64 v6, v6, 1.0                                  // 000000004A70: D1010006 0001E506
	v_add_f32_e64 v7, v7, 1.0                                  // 000000004A78: D1010007 0001E507
	v_rcp_f32_e32 v4, v4                                       // 000000004A80: 7E084504
	v_rcp_f32_e32 v5, v5                                       // 000000004A84: 7E0A4505
	v_rcp_f32_e32 v6, v6                                       // 000000004A88: 7E0C4506
	v_rcp_f32_e32 v7, v7                                       // 000000004A8C: 7E0E4507
	v_mul_f32_e32 v96, v96, v4                                 // 000000004A90: 0AC00960
	v_mul_f32_e32 v97, v97, v5                                 // 000000004A94: 0AC20B61
	v_mul_f32_e32 v98, v98, v6                                 // 000000004A98: 0AC40D62
	v_mul_f32_e32 v99, v99, v7                                 // 000000004A9C: 0AC60F63
	v_mul_f32_e32 v96, v96, v144                               // 000000004AA0: 0AC12160
	v_mul_f32_e32 v97, v97, v145                               // 000000004AA4: 0AC32361
	v_mul_f32_e32 v98, v98, v146                               // 000000004AA8: 0AC52562
	v_mul_f32_e32 v99, v99, v147                               // 000000004AAC: 0AC72763
	v_pk_mul_f32 v[4:5], v[100:101], v[100:101]                // 000000004AB0: D3B14004 1802C964
	v_pk_mul_f32 v[6:7], v[102:103], v[102:103]                // 000000004AB8: D3B14006 1802CD66
	v_pk_fma_f32 v[4:5], v[4:5], s[78:79], v[8:9]              // 000000004AC0: D3B04004 1C209D04
	v_pk_fma_f32 v[6:7], v[6:7], s[78:79], v[8:9]              // 000000004AC8: D3B04006 1C209D06
	v_pk_mul_f32 v[4:5], v[4:5], v[100:101]                    // 000000004AD0: D3B14004 1802C904
	v_pk_mul_f32 v[6:7], v[6:7], v[102:103]                    // 000000004AD8: D3B14006 1802CD06
	v_pk_mul_f32 v[4:5], v[4:5], s[60:61]                      // 000000004AE0: D3B14004 18007904
	v_pk_mul_f32 v[6:7], v[6:7], s[60:61]                      // 000000004AE8: D3B14006 18007906
	v_exp_f32_e32 v4, v4                                       // 000000004AF0: 7E084104
	v_exp_f32_e32 v5, v5                                       // 000000004AF4: 7E0A4105
	v_exp_f32_e32 v6, v6                                       // 000000004AF8: 7E0C4106
	v_exp_f32_e32 v7, v7                                       // 000000004AFC: 7E0E4107
	v_add_f32_e64 v4, v4, 1.0                                  // 000000004B00: D1010004 0001E504
	v_add_f32_e64 v5, v5, 1.0                                  // 000000004B08: D1010005 0001E505
	v_add_f32_e64 v6, v6, 1.0                                  // 000000004B10: D1010006 0001E506
	v_add_f32_e64 v7, v7, 1.0                                  // 000000004B18: D1010007 0001E507
	v_rcp_f32_e32 v4, v4                                       // 000000004B20: 7E084504
	v_rcp_f32_e32 v5, v5                                       // 000000004B24: 7E0A4505
	v_rcp_f32_e32 v6, v6                                       // 000000004B28: 7E0C4506
	v_rcp_f32_e32 v7, v7                                       // 000000004B2C: 7E0E4507
	v_mul_f32_e32 v100, v100, v4                               // 000000004B30: 0AC80964
	v_mul_f32_e32 v101, v101, v5                               // 000000004B34: 0ACA0B65
	v_mul_f32_e32 v102, v102, v6                               // 000000004B38: 0ACC0D66
	v_mul_f32_e32 v103, v103, v7                               // 000000004B3C: 0ACE0F67
	v_mul_f32_e32 v100, v100, v148                             // 000000004B40: 0AC92964
	v_mul_f32_e32 v101, v101, v149                             // 000000004B44: 0ACB2B65
	v_mul_f32_e32 v102, v102, v150                             // 000000004B48: 0ACD2D66
	v_mul_f32_e32 v103, v103, v151                             // 000000004B4C: 0ACF2F67
	v_pk_mul_f32 v[4:5], v[104:105], v[104:105]                // 000000004B50: D3B14004 1802D168
	v_pk_mul_f32 v[6:7], v[106:107], v[106:107]                // 000000004B58: D3B14006 1802D56A
	v_pk_fma_f32 v[4:5], v[4:5], s[78:79], v[8:9]              // 000000004B60: D3B04004 1C209D04
	v_pk_fma_f32 v[6:7], v[6:7], s[78:79], v[8:9]              // 000000004B68: D3B04006 1C209D06
	v_pk_mul_f32 v[4:5], v[4:5], v[104:105]                    // 000000004B70: D3B14004 1802D104
	v_pk_mul_f32 v[6:7], v[6:7], v[106:107]                    // 000000004B78: D3B14006 1802D506
	v_pk_mul_f32 v[4:5], v[4:5], s[60:61]                      // 000000004B80: D3B14004 18007904
	v_pk_mul_f32 v[6:7], v[6:7], s[60:61]                      // 000000004B88: D3B14006 18007906
	v_exp_f32_e32 v4, v4                                       // 000000004B90: 7E084104
	v_exp_f32_e32 v5, v5                                       // 000000004B94: 7E0A4105
	v_exp_f32_e32 v6, v6                                       // 000000004B98: 7E0C4106
	v_exp_f32_e32 v7, v7                                       // 000000004B9C: 7E0E4107
	v_add_f32_e64 v4, v4, 1.0                                  // 000000004BA0: D1010004 0001E504
	v_add_f32_e64 v5, v5, 1.0                                  // 000000004BA8: D1010005 0001E505
	v_add_f32_e64 v6, v6, 1.0                                  // 000000004BB0: D1010006 0001E506
	v_add_f32_e64 v7, v7, 1.0                                  // 000000004BB8: D1010007 0001E507
	v_rcp_f32_e32 v4, v4                                       // 000000004BC0: 7E084504
	v_rcp_f32_e32 v5, v5                                       // 000000004BC4: 7E0A4505
	v_rcp_f32_e32 v6, v6                                       // 000000004BC8: 7E0C4506
	v_rcp_f32_e32 v7, v7                                       // 000000004BCC: 7E0E4507
	v_mul_f32_e32 v104, v104, v4                               // 000000004BD0: 0AD00968
	v_mul_f32_e32 v105, v105, v5                               // 000000004BD4: 0AD20B69
	v_mul_f32_e32 v106, v106, v6                               // 000000004BD8: 0AD40D6A
	v_mul_f32_e32 v107, v107, v7                               // 000000004BDC: 0AD60F6B
	v_mul_f32_e32 v104, v104, v152                             // 000000004BE0: 0AD13168
	v_mul_f32_e32 v105, v105, v153                             // 000000004BE4: 0AD33369
	v_mul_f32_e32 v106, v106, v154                             // 000000004BE8: 0AD5356A
	v_mul_f32_e32 v107, v107, v155                             // 000000004BEC: 0AD7376B
	v_pk_mul_f32 v[4:5], v[108:109], v[108:109]                // 000000004BF0: D3B14004 1802D96C
	v_pk_mul_f32 v[6:7], v[110:111], v[110:111]                // 000000004BF8: D3B14006 1802DD6E
	v_pk_fma_f32 v[4:5], v[4:5], s[78:79], v[8:9]              // 000000004C00: D3B04004 1C209D04
	v_pk_fma_f32 v[6:7], v[6:7], s[78:79], v[8:9]              // 000000004C08: D3B04006 1C209D06
	v_pk_mul_f32 v[4:5], v[4:5], v[108:109]                    // 000000004C10: D3B14004 1802D904
	v_pk_mul_f32 v[6:7], v[6:7], v[110:111]                    // 000000004C18: D3B14006 1802DD06
	v_pk_mul_f32 v[4:5], v[4:5], s[60:61]                      // 000000004C20: D3B14004 18007904
	v_pk_mul_f32 v[6:7], v[6:7], s[60:61]                      // 000000004C28: D3B14006 18007906
	v_exp_f32_e32 v4, v4                                       // 000000004C30: 7E084104
	v_exp_f32_e32 v5, v5                                       // 000000004C34: 7E0A4105
	v_exp_f32_e32 v6, v6                                       // 000000004C38: 7E0C4106
	v_exp_f32_e32 v7, v7                                       // 000000004C3C: 7E0E4107
	v_add_f32_e64 v4, v4, 1.0                                  // 000000004C40: D1010004 0001E504
	v_add_f32_e64 v5, v5, 1.0                                  // 000000004C48: D1010005 0001E505
	v_add_f32_e64 v6, v6, 1.0                                  // 000000004C50: D1010006 0001E506
	v_add_f32_e64 v7, v7, 1.0                                  // 000000004C58: D1010007 0001E507
	v_rcp_f32_e32 v4, v4                                       // 000000004C60: 7E084504
	v_rcp_f32_e32 v5, v5                                       // 000000004C64: 7E0A4505
	v_rcp_f32_e32 v6, v6                                       // 000000004C68: 7E0C4506
	v_rcp_f32_e32 v7, v7                                       // 000000004C6C: 7E0E4507
	v_mul_f32_e32 v108, v108, v4                               // 000000004C70: 0AD8096C
	v_mul_f32_e32 v109, v109, v5                               // 000000004C74: 0ADA0B6D
	v_mul_f32_e32 v110, v110, v6                               // 000000004C78: 0ADC0D6E
	v_mul_f32_e32 v111, v111, v7                               // 000000004C7C: 0ADE0F6F
	v_mul_f32_e32 v108, v108, v156                             // 000000004C80: 0AD9396C
	v_mul_f32_e32 v109, v109, v157                             // 000000004C84: 0ADB3B6D
	v_mul_f32_e32 v110, v110, v158                             // 000000004C88: 0ADD3D6E
	v_mul_f32_e32 v111, v111, v159                             // 000000004C8C: 0ADF3F6F
	v_pk_mul_f32 v[4:5], v[112:113], v[112:113]                // 000000004C90: D3B14004 1802E170
	v_pk_mul_f32 v[6:7], v[114:115], v[114:115]                // 000000004C98: D3B14006 1802E572
	v_pk_fma_f32 v[4:5], v[4:5], s[78:79], v[8:9]              // 000000004CA0: D3B04004 1C209D04
	v_pk_fma_f32 v[6:7], v[6:7], s[78:79], v[8:9]              // 000000004CA8: D3B04006 1C209D06
	v_pk_mul_f32 v[4:5], v[4:5], v[112:113]                    // 000000004CB0: D3B14004 1802E104
	v_pk_mul_f32 v[6:7], v[6:7], v[114:115]                    // 000000004CB8: D3B14006 1802E506
	v_pk_mul_f32 v[4:5], v[4:5], s[60:61]                      // 000000004CC0: D3B14004 18007904
	v_pk_mul_f32 v[6:7], v[6:7], s[60:61]                      // 000000004CC8: D3B14006 18007906
	v_exp_f32_e32 v4, v4                                       // 000000004CD0: 7E084104
	v_exp_f32_e32 v5, v5                                       // 000000004CD4: 7E0A4105
	v_exp_f32_e32 v6, v6                                       // 000000004CD8: 7E0C4106
	v_exp_f32_e32 v7, v7                                       // 000000004CDC: 7E0E4107
	v_add_f32_e64 v4, v4, 1.0                                  // 000000004CE0: D1010004 0001E504
	v_add_f32_e64 v5, v5, 1.0                                  // 000000004CE8: D1010005 0001E505
	v_add_f32_e64 v6, v6, 1.0                                  // 000000004CF0: D1010006 0001E506
	v_add_f32_e64 v7, v7, 1.0                                  // 000000004CF8: D1010007 0001E507
	v_rcp_f32_e32 v4, v4                                       // 000000004D00: 7E084504
	v_rcp_f32_e32 v5, v5                                       // 000000004D04: 7E0A4505
	v_rcp_f32_e32 v6, v6                                       // 000000004D08: 7E0C4506
	v_rcp_f32_e32 v7, v7                                       // 000000004D0C: 7E0E4507
	v_mul_f32_e32 v112, v112, v4                               // 000000004D10: 0AE00970
	v_mul_f32_e32 v113, v113, v5                               // 000000004D14: 0AE20B71
	v_mul_f32_e32 v114, v114, v6                               // 000000004D18: 0AE40D72
	v_mul_f32_e32 v115, v115, v7                               // 000000004D1C: 0AE60F73
	v_mul_f32_e32 v112, v112, v160                             // 000000004D20: 0AE14170
	v_mul_f32_e32 v113, v113, v161                             // 000000004D24: 0AE34371
	v_mul_f32_e32 v114, v114, v162                             // 000000004D28: 0AE54572
	v_mul_f32_e32 v115, v115, v163                             // 000000004D2C: 0AE74773
	s_branch label_0A4D                                        // 000000004D30: BF820180

0000000000004d34 <label_08CD>:
	v_mul_f32_e64 v4, -v68, s6                                 // 000000004D34: D1050004 20000D44
	v_mul_f32_e64 v5, -v69, s6                                 // 000000004D3C: D1050005 20000D45
	v_mul_f32_e64 v6, -v70, s6                                 // 000000004D44: D1050006 20000D46
	v_mul_f32_e64 v7, -v71, s6                                 // 000000004D4C: D1050007 20000D47
	v_exp_f32_e32 v4, v4                                       // 000000004D54: 7E084104
	v_exp_f32_e32 v5, v5                                       // 000000004D58: 7E0A4105
	v_exp_f32_e32 v6, v6                                       // 000000004D5C: 7E0C4106
	v_exp_f32_e32 v7, v7                                       // 000000004D60: 7E0E4107
	v_add_f32_e64 v4, v4, 1.0                                  // 000000004D64: D1010004 0001E504
	v_add_f32_e64 v5, v5, 1.0                                  // 000000004D6C: D1010005 0001E505
	v_add_f32_e64 v6, v6, 1.0                                  // 000000004D74: D1010006 0001E506
	v_add_f32_e64 v7, v7, 1.0                                  // 000000004D7C: D1010007 0001E507
	v_rcp_f32_e32 v4, v4                                       // 000000004D84: 7E084504
	v_rcp_f32_e32 v5, v5                                       // 000000004D88: 7E0A4505
	v_rcp_f32_e32 v6, v6                                       // 000000004D8C: 7E0C4506
	v_rcp_f32_e32 v7, v7                                       // 000000004D90: 7E0E4507
	v_mul_f32_e32 v68, v68, v4                                 // 000000004D94: 0A880944
	v_mul_f32_e32 v69, v69, v5                                 // 000000004D98: 0A8A0B45
	v_mul_f32_e32 v70, v70, v6                                 // 000000004D9C: 0A8C0D46
	v_mul_f32_e32 v71, v71, v7                                 // 000000004DA0: 0A8E0F47
	v_mul_f32_e32 v68, v68, v116                               // 000000004DA4: 0A88E944
	v_mul_f32_e32 v69, v69, v117                               // 000000004DA8: 0A8AEB45
	v_mul_f32_e32 v70, v70, v118                               // 000000004DAC: 0A8CED46
	v_mul_f32_e32 v71, v71, v119                               // 000000004DB0: 0A8EEF47
	v_mul_f32_e64 v4, -v72, s6                                 // 000000004DB4: D1050004 20000D48
	v_mul_f32_e64 v5, -v73, s6                                 // 000000004DBC: D1050005 20000D49
	v_mul_f32_e64 v6, -v74, s6                                 // 000000004DC4: D1050006 20000D4A
	v_mul_f32_e64 v7, -v75, s6                                 // 000000004DCC: D1050007 20000D4B
	v_exp_f32_e32 v4, v4                                       // 000000004DD4: 7E084104
	v_exp_f32_e32 v5, v5                                       // 000000004DD8: 7E0A4105
	v_exp_f32_e32 v6, v6                                       // 000000004DDC: 7E0C4106
	v_exp_f32_e32 v7, v7                                       // 000000004DE0: 7E0E4107
	v_add_f32_e64 v4, v4, 1.0                                  // 000000004DE4: D1010004 0001E504
	v_add_f32_e64 v5, v5, 1.0                                  // 000000004DEC: D1010005 0001E505
	v_add_f32_e64 v6, v6, 1.0                                  // 000000004DF4: D1010006 0001E506
	v_add_f32_e64 v7, v7, 1.0                                  // 000000004DFC: D1010007 0001E507
	v_rcp_f32_e32 v4, v4                                       // 000000004E04: 7E084504
	v_rcp_f32_e32 v5, v5                                       // 000000004E08: 7E0A4505
	v_rcp_f32_e32 v6, v6                                       // 000000004E0C: 7E0C4506
	v_rcp_f32_e32 v7, v7                                       // 000000004E10: 7E0E4507
	v_mul_f32_e32 v72, v72, v4                                 // 000000004E14: 0A900948
	v_mul_f32_e32 v73, v73, v5                                 // 000000004E18: 0A920B49
	v_mul_f32_e32 v74, v74, v6                                 // 000000004E1C: 0A940D4A
	v_mul_f32_e32 v75, v75, v7                                 // 000000004E20: 0A960F4B
	v_mul_f32_e32 v72, v72, v120                               // 000000004E24: 0A90F148
	v_mul_f32_e32 v73, v73, v121                               // 000000004E28: 0A92F349
	v_mul_f32_e32 v74, v74, v122                               // 000000004E2C: 0A94F54A
	v_mul_f32_e32 v75, v75, v123                               // 000000004E30: 0A96F74B
	v_mul_f32_e64 v4, -v76, s6                                 // 000000004E34: D1050004 20000D4C
	v_mul_f32_e64 v5, -v77, s6                                 // 000000004E3C: D1050005 20000D4D
	v_mul_f32_e64 v6, -v78, s6                                 // 000000004E44: D1050006 20000D4E
	v_mul_f32_e64 v7, -v79, s6                                 // 000000004E4C: D1050007 20000D4F
	v_exp_f32_e32 v4, v4                                       // 000000004E54: 7E084104
	v_exp_f32_e32 v5, v5                                       // 000000004E58: 7E0A4105
	v_exp_f32_e32 v6, v6                                       // 000000004E5C: 7E0C4106
	v_exp_f32_e32 v7, v7                                       // 000000004E60: 7E0E4107
	v_add_f32_e64 v4, v4, 1.0                                  // 000000004E64: D1010004 0001E504
	v_add_f32_e64 v5, v5, 1.0                                  // 000000004E6C: D1010005 0001E505
	v_add_f32_e64 v6, v6, 1.0                                  // 000000004E74: D1010006 0001E506
	v_add_f32_e64 v7, v7, 1.0                                  // 000000004E7C: D1010007 0001E507
	v_rcp_f32_e32 v4, v4                                       // 000000004E84: 7E084504
	v_rcp_f32_e32 v5, v5                                       // 000000004E88: 7E0A4505
	v_rcp_f32_e32 v6, v6                                       // 000000004E8C: 7E0C4506
	v_rcp_f32_e32 v7, v7                                       // 000000004E90: 7E0E4507
	v_mul_f32_e32 v76, v76, v4                                 // 000000004E94: 0A98094C
	v_mul_f32_e32 v77, v77, v5                                 // 000000004E98: 0A9A0B4D
	v_mul_f32_e32 v78, v78, v6                                 // 000000004E9C: 0A9C0D4E
	v_mul_f32_e32 v79, v79, v7                                 // 000000004EA0: 0A9E0F4F
	v_mul_f32_e32 v76, v76, v124                               // 000000004EA4: 0A98F94C
	v_mul_f32_e32 v77, v77, v125                               // 000000004EA8: 0A9AFB4D
	v_mul_f32_e32 v78, v78, v126                               // 000000004EAC: 0A9CFD4E
	v_mul_f32_e32 v79, v79, v127                               // 000000004EB0: 0A9EFF4F
	v_mul_f32_e64 v4, -v80, s6                                 // 000000004EB4: D1050004 20000D50
	v_mul_f32_e64 v5, -v81, s6                                 // 000000004EBC: D1050005 20000D51
	v_mul_f32_e64 v6, -v82, s6                                 // 000000004EC4: D1050006 20000D52
	v_mul_f32_e64 v7, -v83, s6                                 // 000000004ECC: D1050007 20000D53
	v_exp_f32_e32 v4, v4                                       // 000000004ED4: 7E084104
	v_exp_f32_e32 v5, v5                                       // 000000004ED8: 7E0A4105
	v_exp_f32_e32 v6, v6                                       // 000000004EDC: 7E0C4106
	v_exp_f32_e32 v7, v7                                       // 000000004EE0: 7E0E4107
	v_add_f32_e64 v4, v4, 1.0                                  // 000000004EE4: D1010004 0001E504
	v_add_f32_e64 v5, v5, 1.0                                  // 000000004EEC: D1010005 0001E505
	v_add_f32_e64 v6, v6, 1.0                                  // 000000004EF4: D1010006 0001E506
	v_add_f32_e64 v7, v7, 1.0                                  // 000000004EFC: D1010007 0001E507
	v_rcp_f32_e32 v4, v4                                       // 000000004F04: 7E084504
	v_rcp_f32_e32 v5, v5                                       // 000000004F08: 7E0A4505
	v_rcp_f32_e32 v6, v6                                       // 000000004F0C: 7E0C4506
	v_rcp_f32_e32 v7, v7                                       // 000000004F10: 7E0E4507
	v_mul_f32_e32 v80, v80, v4                                 // 000000004F14: 0AA00950
	v_mul_f32_e32 v81, v81, v5                                 // 000000004F18: 0AA20B51
	v_mul_f32_e32 v82, v82, v6                                 // 000000004F1C: 0AA40D52
	v_mul_f32_e32 v83, v83, v7                                 // 000000004F20: 0AA60F53
	v_mul_f32_e32 v80, v80, v128                               // 000000004F24: 0AA10150
	v_mul_f32_e32 v81, v81, v129                               // 000000004F28: 0AA30351
	v_mul_f32_e32 v82, v82, v130                               // 000000004F2C: 0AA50552
	v_mul_f32_e32 v83, v83, v131                               // 000000004F30: 0AA70753
	v_mul_f32_e64 v4, -v84, s6                                 // 000000004F34: D1050004 20000D54
	v_mul_f32_e64 v5, -v85, s6                                 // 000000004F3C: D1050005 20000D55
	v_mul_f32_e64 v6, -v86, s6                                 // 000000004F44: D1050006 20000D56
	v_mul_f32_e64 v7, -v87, s6                                 // 000000004F4C: D1050007 20000D57
	v_exp_f32_e32 v4, v4                                       // 000000004F54: 7E084104
	v_exp_f32_e32 v5, v5                                       // 000000004F58: 7E0A4105
	v_exp_f32_e32 v6, v6                                       // 000000004F5C: 7E0C4106
	v_exp_f32_e32 v7, v7                                       // 000000004F60: 7E0E4107
	v_add_f32_e64 v4, v4, 1.0                                  // 000000004F64: D1010004 0001E504
	v_add_f32_e64 v5, v5, 1.0                                  // 000000004F6C: D1010005 0001E505
	v_add_f32_e64 v6, v6, 1.0                                  // 000000004F74: D1010006 0001E506
	v_add_f32_e64 v7, v7, 1.0                                  // 000000004F7C: D1010007 0001E507
	v_rcp_f32_e32 v4, v4                                       // 000000004F84: 7E084504
	v_rcp_f32_e32 v5, v5                                       // 000000004F88: 7E0A4505
	v_rcp_f32_e32 v6, v6                                       // 000000004F8C: 7E0C4506
	v_rcp_f32_e32 v7, v7                                       // 000000004F90: 7E0E4507
	v_mul_f32_e32 v84, v84, v4                                 // 000000004F94: 0AA80954
	v_mul_f32_e32 v85, v85, v5                                 // 000000004F98: 0AAA0B55
	v_mul_f32_e32 v86, v86, v6                                 // 000000004F9C: 0AAC0D56
	v_mul_f32_e32 v87, v87, v7                                 // 000000004FA0: 0AAE0F57
	v_mul_f32_e32 v84, v84, v132                               // 000000004FA4: 0AA90954
	v_mul_f32_e32 v85, v85, v133                               // 000000004FA8: 0AAB0B55
	v_mul_f32_e32 v86, v86, v134                               // 000000004FAC: 0AAD0D56
	v_mul_f32_e32 v87, v87, v135                               // 000000004FB0: 0AAF0F57
	v_mul_f32_e64 v4, -v88, s6                                 // 000000004FB4: D1050004 20000D58
	v_mul_f32_e64 v5, -v89, s6                                 // 000000004FBC: D1050005 20000D59
	v_mul_f32_e64 v6, -v90, s6                                 // 000000004FC4: D1050006 20000D5A
	v_mul_f32_e64 v7, -v91, s6                                 // 000000004FCC: D1050007 20000D5B
	v_exp_f32_e32 v4, v4                                       // 000000004FD4: 7E084104
	v_exp_f32_e32 v5, v5                                       // 000000004FD8: 7E0A4105
	v_exp_f32_e32 v6, v6                                       // 000000004FDC: 7E0C4106
	v_exp_f32_e32 v7, v7                                       // 000000004FE0: 7E0E4107
	v_add_f32_e64 v4, v4, 1.0                                  // 000000004FE4: D1010004 0001E504
	v_add_f32_e64 v5, v5, 1.0                                  // 000000004FEC: D1010005 0001E505
	v_add_f32_e64 v6, v6, 1.0                                  // 000000004FF4: D1010006 0001E506
	v_add_f32_e64 v7, v7, 1.0                                  // 000000004FFC: D1010007 0001E507
	v_rcp_f32_e32 v4, v4                                       // 000000005004: 7E084504
	v_rcp_f32_e32 v5, v5                                       // 000000005008: 7E0A4505
	v_rcp_f32_e32 v6, v6                                       // 00000000500C: 7E0C4506
	v_rcp_f32_e32 v7, v7                                       // 000000005010: 7E0E4507
	v_mul_f32_e32 v88, v88, v4                                 // 000000005014: 0AB00958
	v_mul_f32_e32 v89, v89, v5                                 // 000000005018: 0AB20B59
	v_mul_f32_e32 v90, v90, v6                                 // 00000000501C: 0AB40D5A
	v_mul_f32_e32 v91, v91, v7                                 // 000000005020: 0AB60F5B
	v_mul_f32_e32 v88, v88, v136                               // 000000005024: 0AB11158
	v_mul_f32_e32 v89, v89, v137                               // 000000005028: 0AB31359
	v_mul_f32_e32 v90, v90, v138                               // 00000000502C: 0AB5155A
	v_mul_f32_e32 v91, v91, v139                               // 000000005030: 0AB7175B
	v_mul_f32_e64 v4, -v92, s6                                 // 000000005034: D1050004 20000D5C
	v_mul_f32_e64 v5, -v93, s6                                 // 00000000503C: D1050005 20000D5D
	v_mul_f32_e64 v6, -v94, s6                                 // 000000005044: D1050006 20000D5E
	v_mul_f32_e64 v7, -v95, s6                                 // 00000000504C: D1050007 20000D5F
	v_exp_f32_e32 v4, v4                                       // 000000005054: 7E084104
	v_exp_f32_e32 v5, v5                                       // 000000005058: 7E0A4105
	v_exp_f32_e32 v6, v6                                       // 00000000505C: 7E0C4106
	v_exp_f32_e32 v7, v7                                       // 000000005060: 7E0E4107
	v_add_f32_e64 v4, v4, 1.0                                  // 000000005064: D1010004 0001E504
	v_add_f32_e64 v5, v5, 1.0                                  // 00000000506C: D1010005 0001E505
	v_add_f32_e64 v6, v6, 1.0                                  // 000000005074: D1010006 0001E506
	v_add_f32_e64 v7, v7, 1.0                                  // 00000000507C: D1010007 0001E507
	v_rcp_f32_e32 v4, v4                                       // 000000005084: 7E084504
	v_rcp_f32_e32 v5, v5                                       // 000000005088: 7E0A4505
	v_rcp_f32_e32 v6, v6                                       // 00000000508C: 7E0C4506
	v_rcp_f32_e32 v7, v7                                       // 000000005090: 7E0E4507
	v_mul_f32_e32 v92, v92, v4                                 // 000000005094: 0AB8095C
	v_mul_f32_e32 v93, v93, v5                                 // 000000005098: 0ABA0B5D
	v_mul_f32_e32 v94, v94, v6                                 // 00000000509C: 0ABC0D5E
	v_mul_f32_e32 v95, v95, v7                                 // 0000000050A0: 0ABE0F5F
	v_mul_f32_e32 v92, v92, v140                               // 0000000050A4: 0AB9195C
	v_mul_f32_e32 v93, v93, v141                               // 0000000050A8: 0ABB1B5D
	v_mul_f32_e32 v94, v94, v142                               // 0000000050AC: 0ABD1D5E
	v_mul_f32_e32 v95, v95, v143                               // 0000000050B0: 0ABF1F5F
	v_mul_f32_e64 v4, -v96, s6                                 // 0000000050B4: D1050004 20000D60
	v_mul_f32_e64 v5, -v97, s6                                 // 0000000050BC: D1050005 20000D61
	v_mul_f32_e64 v6, -v98, s6                                 // 0000000050C4: D1050006 20000D62
	v_mul_f32_e64 v7, -v99, s6                                 // 0000000050CC: D1050007 20000D63
	v_exp_f32_e32 v4, v4                                       // 0000000050D4: 7E084104
	v_exp_f32_e32 v5, v5                                       // 0000000050D8: 7E0A4105
	v_exp_f32_e32 v6, v6                                       // 0000000050DC: 7E0C4106
	v_exp_f32_e32 v7, v7                                       // 0000000050E0: 7E0E4107
	v_add_f32_e64 v4, v4, 1.0                                  // 0000000050E4: D1010004 0001E504
	v_add_f32_e64 v5, v5, 1.0                                  // 0000000050EC: D1010005 0001E505
	v_add_f32_e64 v6, v6, 1.0                                  // 0000000050F4: D1010006 0001E506
	v_add_f32_e64 v7, v7, 1.0                                  // 0000000050FC: D1010007 0001E507
	v_rcp_f32_e32 v4, v4                                       // 000000005104: 7E084504
	v_rcp_f32_e32 v5, v5                                       // 000000005108: 7E0A4505
	v_rcp_f32_e32 v6, v6                                       // 00000000510C: 7E0C4506
	v_rcp_f32_e32 v7, v7                                       // 000000005110: 7E0E4507
	v_mul_f32_e32 v96, v96, v4                                 // 000000005114: 0AC00960
	v_mul_f32_e32 v97, v97, v5                                 // 000000005118: 0AC20B61
	v_mul_f32_e32 v98, v98, v6                                 // 00000000511C: 0AC40D62
	v_mul_f32_e32 v99, v99, v7                                 // 000000005120: 0AC60F63
	v_mul_f32_e32 v96, v96, v144                               // 000000005124: 0AC12160
	v_mul_f32_e32 v97, v97, v145                               // 000000005128: 0AC32361
	v_mul_f32_e32 v98, v98, v146                               // 00000000512C: 0AC52562
	v_mul_f32_e32 v99, v99, v147                               // 000000005130: 0AC72763
	v_mul_f32_e64 v4, -v100, s6                                // 000000005134: D1050004 20000D64
	v_mul_f32_e64 v5, -v101, s6                                // 00000000513C: D1050005 20000D65
	v_mul_f32_e64 v6, -v102, s6                                // 000000005144: D1050006 20000D66
	v_mul_f32_e64 v7, -v103, s6                                // 00000000514C: D1050007 20000D67
	v_exp_f32_e32 v4, v4                                       // 000000005154: 7E084104
	v_exp_f32_e32 v5, v5                                       // 000000005158: 7E0A4105
	v_exp_f32_e32 v6, v6                                       // 00000000515C: 7E0C4106
	v_exp_f32_e32 v7, v7                                       // 000000005160: 7E0E4107
	v_add_f32_e64 v4, v4, 1.0                                  // 000000005164: D1010004 0001E504
	v_add_f32_e64 v5, v5, 1.0                                  // 00000000516C: D1010005 0001E505
	v_add_f32_e64 v6, v6, 1.0                                  // 000000005174: D1010006 0001E506
	v_add_f32_e64 v7, v7, 1.0                                  // 00000000517C: D1010007 0001E507
	v_rcp_f32_e32 v4, v4                                       // 000000005184: 7E084504
	v_rcp_f32_e32 v5, v5                                       // 000000005188: 7E0A4505
	v_rcp_f32_e32 v6, v6                                       // 00000000518C: 7E0C4506
	v_rcp_f32_e32 v7, v7                                       // 000000005190: 7E0E4507
	v_mul_f32_e32 v100, v100, v4                               // 000000005194: 0AC80964
	v_mul_f32_e32 v101, v101, v5                               // 000000005198: 0ACA0B65
	v_mul_f32_e32 v102, v102, v6                               // 00000000519C: 0ACC0D66
	v_mul_f32_e32 v103, v103, v7                               // 0000000051A0: 0ACE0F67
	v_mul_f32_e32 v100, v100, v148                             // 0000000051A4: 0AC92964
	v_mul_f32_e32 v101, v101, v149                             // 0000000051A8: 0ACB2B65
	v_mul_f32_e32 v102, v102, v150                             // 0000000051AC: 0ACD2D66
	v_mul_f32_e32 v103, v103, v151                             // 0000000051B0: 0ACF2F67
	v_mul_f32_e64 v4, -v104, s6                                // 0000000051B4: D1050004 20000D68
	v_mul_f32_e64 v5, -v105, s6                                // 0000000051BC: D1050005 20000D69
	v_mul_f32_e64 v6, -v106, s6                                // 0000000051C4: D1050006 20000D6A
	v_mul_f32_e64 v7, -v107, s6                                // 0000000051CC: D1050007 20000D6B
	v_exp_f32_e32 v4, v4                                       // 0000000051D4: 7E084104
	v_exp_f32_e32 v5, v5                                       // 0000000051D8: 7E0A4105
	v_exp_f32_e32 v6, v6                                       // 0000000051DC: 7E0C4106
	v_exp_f32_e32 v7, v7                                       // 0000000051E0: 7E0E4107
	v_add_f32_e64 v4, v4, 1.0                                  // 0000000051E4: D1010004 0001E504
	v_add_f32_e64 v5, v5, 1.0                                  // 0000000051EC: D1010005 0001E505
	v_add_f32_e64 v6, v6, 1.0                                  // 0000000051F4: D1010006 0001E506
	v_add_f32_e64 v7, v7, 1.0                                  // 0000000051FC: D1010007 0001E507
	v_rcp_f32_e32 v4, v4                                       // 000000005204: 7E084504
	v_rcp_f32_e32 v5, v5                                       // 000000005208: 7E0A4505
	v_rcp_f32_e32 v6, v6                                       // 00000000520C: 7E0C4506
	v_rcp_f32_e32 v7, v7                                       // 000000005210: 7E0E4507
	v_mul_f32_e32 v104, v104, v4                               // 000000005214: 0AD00968
	v_mul_f32_e32 v105, v105, v5                               // 000000005218: 0AD20B69
	v_mul_f32_e32 v106, v106, v6                               // 00000000521C: 0AD40D6A
	v_mul_f32_e32 v107, v107, v7                               // 000000005220: 0AD60F6B
	v_mul_f32_e32 v104, v104, v152                             // 000000005224: 0AD13168
	v_mul_f32_e32 v105, v105, v153                             // 000000005228: 0AD33369
	v_mul_f32_e32 v106, v106, v154                             // 00000000522C: 0AD5356A
	v_mul_f32_e32 v107, v107, v155                             // 000000005230: 0AD7376B
	v_mul_f32_e64 v4, -v108, s6                                // 000000005234: D1050004 20000D6C
	v_mul_f32_e64 v5, -v109, s6                                // 00000000523C: D1050005 20000D6D
	v_mul_f32_e64 v6, -v110, s6                                // 000000005244: D1050006 20000D6E
	v_mul_f32_e64 v7, -v111, s6                                // 00000000524C: D1050007 20000D6F
	v_exp_f32_e32 v4, v4                                       // 000000005254: 7E084104
	v_exp_f32_e32 v5, v5                                       // 000000005258: 7E0A4105
	v_exp_f32_e32 v6, v6                                       // 00000000525C: 7E0C4106
	v_exp_f32_e32 v7, v7                                       // 000000005260: 7E0E4107
	v_add_f32_e64 v4, v4, 1.0                                  // 000000005264: D1010004 0001E504
	v_add_f32_e64 v5, v5, 1.0                                  // 00000000526C: D1010005 0001E505
	v_add_f32_e64 v6, v6, 1.0                                  // 000000005274: D1010006 0001E506
	v_add_f32_e64 v7, v7, 1.0                                  // 00000000527C: D1010007 0001E507
	v_rcp_f32_e32 v4, v4                                       // 000000005284: 7E084504
	v_rcp_f32_e32 v5, v5                                       // 000000005288: 7E0A4505
	v_rcp_f32_e32 v6, v6                                       // 00000000528C: 7E0C4506
	v_rcp_f32_e32 v7, v7                                       // 000000005290: 7E0E4507
	v_mul_f32_e32 v108, v108, v4                               // 000000005294: 0AD8096C
	v_mul_f32_e32 v109, v109, v5                               // 000000005298: 0ADA0B6D
	v_mul_f32_e32 v110, v110, v6                               // 00000000529C: 0ADC0D6E
	v_mul_f32_e32 v111, v111, v7                               // 0000000052A0: 0ADE0F6F
	v_mul_f32_e32 v108, v108, v156                             // 0000000052A4: 0AD9396C
	v_mul_f32_e32 v109, v109, v157                             // 0000000052A8: 0ADB3B6D
	v_mul_f32_e32 v110, v110, v158                             // 0000000052AC: 0ADD3D6E
	v_mul_f32_e32 v111, v111, v159                             // 0000000052B0: 0ADF3F6F
	v_mul_f32_e64 v4, -v112, s6                                // 0000000052B4: D1050004 20000D70
	v_mul_f32_e64 v5, -v113, s6                                // 0000000052BC: D1050005 20000D71
	v_mul_f32_e64 v6, -v114, s6                                // 0000000052C4: D1050006 20000D72
	v_mul_f32_e64 v7, -v115, s6                                // 0000000052CC: D1050007 20000D73
	v_exp_f32_e32 v4, v4                                       // 0000000052D4: 7E084104
	v_exp_f32_e32 v5, v5                                       // 0000000052D8: 7E0A4105
	v_exp_f32_e32 v6, v6                                       // 0000000052DC: 7E0C4106
	v_exp_f32_e32 v7, v7                                       // 0000000052E0: 7E0E4107
	v_add_f32_e64 v4, v4, 1.0                                  // 0000000052E4: D1010004 0001E504
	v_add_f32_e64 v5, v5, 1.0                                  // 0000000052EC: D1010005 0001E505
	v_add_f32_e64 v6, v6, 1.0                                  // 0000000052F4: D1010006 0001E506
	v_add_f32_e64 v7, v7, 1.0                                  // 0000000052FC: D1010007 0001E507
	v_rcp_f32_e32 v4, v4                                       // 000000005304: 7E084504
	v_rcp_f32_e32 v5, v5                                       // 000000005308: 7E0A4505
	v_rcp_f32_e32 v6, v6                                       // 00000000530C: 7E0C4506
	v_rcp_f32_e32 v7, v7                                       // 000000005310: 7E0E4507
	v_mul_f32_e32 v112, v112, v4                               // 000000005314: 0AE00970
	v_mul_f32_e32 v113, v113, v5                               // 000000005318: 0AE20B71
	v_mul_f32_e32 v114, v114, v6                               // 00000000531C: 0AE40D72
	v_mul_f32_e32 v115, v115, v7                               // 000000005320: 0AE60F73
	v_mul_f32_e32 v112, v112, v160                             // 000000005324: 0AE14170
	v_mul_f32_e32 v113, v113, v161                             // 000000005328: 0AE34371
	v_mul_f32_e32 v114, v114, v162                             // 00000000532C: 0AE54572
	v_mul_f32_e32 v115, v115, v163                             // 000000005330: 0AE74773

0000000000005334 <label_0A4D>:
	v_cmp_u_f32_e64 s[46:47], v68, v68                         // 000000005334: D048002E 00028944
	v_add3_u32 v16, v68, v19, 1                                // 00000000533C: D1FF0010 02062744
	v_cndmask_b32_e64 v4, v16, v18, s[46:47]                   // 000000005344: D1000004 00BA2510
	v_cmp_u_f32_e64 s[46:47], v69, v69                         // 00000000534C: D048002E 00028B45
	v_add3_u32 v16, v69, v19, 1                                // 000000005354: D1FF0010 02062745
	v_cndmask_b32_e64 v5, v16, v18, s[46:47]                   // 00000000535C: D1000005 00BA2510
	v_perm_b32 v68, v5, v4, s52                                // 000000005364: D1ED0044 00D20905
	v_cmp_u_f32_e64 s[46:47], v70, v70                         // 00000000536C: D048002E 00028D46
	v_add3_u32 v16, v70, v19, 1                                // 000000005374: D1FF0010 02062746
	v_cndmask_b32_e64 v4, v16, v18, s[46:47]                   // 00000000537C: D1000004 00BA2510
	v_cmp_u_f32_e64 s[46:47], v71, v71                         // 000000005384: D048002E 00028F47
	v_add3_u32 v16, v71, v19, 1                                // 00000000538C: D1FF0010 02062747
	v_cndmask_b32_e64 v5, v16, v18, s[46:47]                   // 000000005394: D1000005 00BA2510
	v_perm_b32 v69, v5, v4, s52                                // 00000000539C: D1ED0045 00D20905
	v_cmp_u_f32_e64 s[46:47], v72, v72                         // 0000000053A4: D048002E 00029148
	v_add3_u32 v16, v72, v19, 1                                // 0000000053AC: D1FF0010 02062748
	v_cndmask_b32_e64 v4, v16, v18, s[46:47]                   // 0000000053B4: D1000004 00BA2510
	v_cmp_u_f32_e64 s[46:47], v73, v73                         // 0000000053BC: D048002E 00029349
	v_add3_u32 v16, v73, v19, 1                                // 0000000053C4: D1FF0010 02062749
	v_cndmask_b32_e64 v5, v16, v18, s[46:47]                   // 0000000053CC: D1000005 00BA2510
	v_perm_b32 v70, v5, v4, s52                                // 0000000053D4: D1ED0046 00D20905
	v_cmp_u_f32_e64 s[46:47], v74, v74                         // 0000000053DC: D048002E 0002954A
	v_add3_u32 v16, v74, v19, 1                                // 0000000053E4: D1FF0010 0206274A
	v_cndmask_b32_e64 v4, v16, v18, s[46:47]                   // 0000000053EC: D1000004 00BA2510
	v_cmp_u_f32_e64 s[46:47], v75, v75                         // 0000000053F4: D048002E 0002974B
	v_add3_u32 v16, v75, v19, 1                                // 0000000053FC: D1FF0010 0206274B
	v_cndmask_b32_e64 v5, v16, v18, s[46:47]                   // 000000005404: D1000005 00BA2510
	v_perm_b32 v71, v5, v4, s52                                // 00000000540C: D1ED0047 00D20905
	v_cmp_u_f32_e64 s[46:47], v76, v76                         // 000000005414: D048002E 0002994C
	v_add3_u32 v16, v76, v19, 1                                // 00000000541C: D1FF0010 0206274C
	v_cndmask_b32_e64 v4, v16, v18, s[46:47]                   // 000000005424: D1000004 00BA2510
	v_cmp_u_f32_e64 s[46:47], v77, v77                         // 00000000542C: D048002E 00029B4D
	v_add3_u32 v16, v77, v19, 1                                // 000000005434: D1FF0010 0206274D
	v_cndmask_b32_e64 v5, v16, v18, s[46:47]                   // 00000000543C: D1000005 00BA2510
	v_perm_b32 v72, v5, v4, s52                                // 000000005444: D1ED0048 00D20905
	v_cmp_u_f32_e64 s[46:47], v78, v78                         // 00000000544C: D048002E 00029D4E
	v_add3_u32 v16, v78, v19, 1                                // 000000005454: D1FF0010 0206274E
	v_cndmask_b32_e64 v4, v16, v18, s[46:47]                   // 00000000545C: D1000004 00BA2510
	v_cmp_u_f32_e64 s[46:47], v79, v79                         // 000000005464: D048002E 00029F4F
	v_add3_u32 v16, v79, v19, 1                                // 00000000546C: D1FF0010 0206274F
	v_cndmask_b32_e64 v5, v16, v18, s[46:47]                   // 000000005474: D1000005 00BA2510
	v_perm_b32 v73, v5, v4, s52                                // 00000000547C: D1ED0049 00D20905
	v_cmp_u_f32_e64 s[46:47], v80, v80                         // 000000005484: D048002E 0002A150
	v_add3_u32 v16, v80, v19, 1                                // 00000000548C: D1FF0010 02062750
	v_cndmask_b32_e64 v4, v16, v18, s[46:47]                   // 000000005494: D1000004 00BA2510
	v_cmp_u_f32_e64 s[46:47], v81, v81                         // 00000000549C: D048002E 0002A351
	v_add3_u32 v16, v81, v19, 1                                // 0000000054A4: D1FF0010 02062751
	v_cndmask_b32_e64 v5, v16, v18, s[46:47]                   // 0000000054AC: D1000005 00BA2510
	v_perm_b32 v74, v5, v4, s52                                // 0000000054B4: D1ED004A 00D20905
	v_cmp_u_f32_e64 s[46:47], v82, v82                         // 0000000054BC: D048002E 0002A552
	v_add3_u32 v16, v82, v19, 1                                // 0000000054C4: D1FF0010 02062752
	v_cndmask_b32_e64 v4, v16, v18, s[46:47]                   // 0000000054CC: D1000004 00BA2510
	v_cmp_u_f32_e64 s[46:47], v83, v83                         // 0000000054D4: D048002E 0002A753
	v_add3_u32 v16, v83, v19, 1                                // 0000000054DC: D1FF0010 02062753
	v_cndmask_b32_e64 v5, v16, v18, s[46:47]                   // 0000000054E4: D1000005 00BA2510
	v_perm_b32 v75, v5, v4, s52                                // 0000000054EC: D1ED004B 00D20905
	v_cmp_u_f32_e64 s[46:47], v84, v84                         // 0000000054F4: D048002E 0002A954
	v_add3_u32 v16, v84, v19, 1                                // 0000000054FC: D1FF0010 02062754
	v_cndmask_b32_e64 v4, v16, v18, s[46:47]                   // 000000005504: D1000004 00BA2510
	v_cmp_u_f32_e64 s[46:47], v85, v85                         // 00000000550C: D048002E 0002AB55
	v_add3_u32 v16, v85, v19, 1                                // 000000005514: D1FF0010 02062755
	v_cndmask_b32_e64 v5, v16, v18, s[46:47]                   // 00000000551C: D1000005 00BA2510
	v_perm_b32 v76, v5, v4, s52                                // 000000005524: D1ED004C 00D20905
	v_cmp_u_f32_e64 s[46:47], v86, v86                         // 00000000552C: D048002E 0002AD56
	v_add3_u32 v16, v86, v19, 1                                // 000000005534: D1FF0010 02062756
	v_cndmask_b32_e64 v4, v16, v18, s[46:47]                   // 00000000553C: D1000004 00BA2510
	v_cmp_u_f32_e64 s[46:47], v87, v87                         // 000000005544: D048002E 0002AF57
	v_add3_u32 v16, v87, v19, 1                                // 00000000554C: D1FF0010 02062757
	v_cndmask_b32_e64 v5, v16, v18, s[46:47]                   // 000000005554: D1000005 00BA2510
	v_perm_b32 v77, v5, v4, s52                                // 00000000555C: D1ED004D 00D20905
	v_cmp_u_f32_e64 s[46:47], v88, v88                         // 000000005564: D048002E 0002B158
	v_add3_u32 v16, v88, v19, 1                                // 00000000556C: D1FF0010 02062758
	v_cndmask_b32_e64 v4, v16, v18, s[46:47]                   // 000000005574: D1000004 00BA2510
	v_cmp_u_f32_e64 s[46:47], v89, v89                         // 00000000557C: D048002E 0002B359
	v_add3_u32 v16, v89, v19, 1                                // 000000005584: D1FF0010 02062759
	v_cndmask_b32_e64 v5, v16, v18, s[46:47]                   // 00000000558C: D1000005 00BA2510
	v_perm_b32 v78, v5, v4, s52                                // 000000005594: D1ED004E 00D20905
	v_cmp_u_f32_e64 s[46:47], v90, v90                         // 00000000559C: D048002E 0002B55A
	v_add3_u32 v16, v90, v19, 1                                // 0000000055A4: D1FF0010 0206275A
	v_cndmask_b32_e64 v4, v16, v18, s[46:47]                   // 0000000055AC: D1000004 00BA2510
	v_cmp_u_f32_e64 s[46:47], v91, v91                         // 0000000055B4: D048002E 0002B75B
	v_add3_u32 v16, v91, v19, 1                                // 0000000055BC: D1FF0010 0206275B
	v_cndmask_b32_e64 v5, v16, v18, s[46:47]                   // 0000000055C4: D1000005 00BA2510
	v_perm_b32 v79, v5, v4, s52                                // 0000000055CC: D1ED004F 00D20905
	v_cmp_u_f32_e64 s[46:47], v92, v92                         // 0000000055D4: D048002E 0002B95C
	v_add3_u32 v16, v92, v19, 1                                // 0000000055DC: D1FF0010 0206275C
	v_cndmask_b32_e64 v4, v16, v18, s[46:47]                   // 0000000055E4: D1000004 00BA2510
	v_cmp_u_f32_e64 s[46:47], v93, v93                         // 0000000055EC: D048002E 0002BB5D
	v_add3_u32 v16, v93, v19, 1                                // 0000000055F4: D1FF0010 0206275D
	v_cndmask_b32_e64 v5, v16, v18, s[46:47]                   // 0000000055FC: D1000005 00BA2510
	v_perm_b32 v80, v5, v4, s52                                // 000000005604: D1ED0050 00D20905
	v_cmp_u_f32_e64 s[46:47], v94, v94                         // 00000000560C: D048002E 0002BD5E
	v_add3_u32 v16, v94, v19, 1                                // 000000005614: D1FF0010 0206275E
	v_cndmask_b32_e64 v4, v16, v18, s[46:47]                   // 00000000561C: D1000004 00BA2510
	v_cmp_u_f32_e64 s[46:47], v95, v95                         // 000000005624: D048002E 0002BF5F
	v_add3_u32 v16, v95, v19, 1                                // 00000000562C: D1FF0010 0206275F
	v_cndmask_b32_e64 v5, v16, v18, s[46:47]                   // 000000005634: D1000005 00BA2510
	v_perm_b32 v81, v5, v4, s52                                // 00000000563C: D1ED0051 00D20905
	v_cmp_u_f32_e64 s[46:47], v96, v96                         // 000000005644: D048002E 0002C160
	v_add3_u32 v16, v96, v19, 1                                // 00000000564C: D1FF0010 02062760
	v_cndmask_b32_e64 v4, v16, v18, s[46:47]                   // 000000005654: D1000004 00BA2510
	v_cmp_u_f32_e64 s[46:47], v97, v97                         // 00000000565C: D048002E 0002C361
	v_add3_u32 v16, v97, v19, 1                                // 000000005664: D1FF0010 02062761
	v_cndmask_b32_e64 v5, v16, v18, s[46:47]                   // 00000000566C: D1000005 00BA2510
	v_perm_b32 v82, v5, v4, s52                                // 000000005674: D1ED0052 00D20905
	v_cmp_u_f32_e64 s[46:47], v98, v98                         // 00000000567C: D048002E 0002C562
	v_add3_u32 v16, v98, v19, 1                                // 000000005684: D1FF0010 02062762
	v_cndmask_b32_e64 v4, v16, v18, s[46:47]                   // 00000000568C: D1000004 00BA2510
	v_cmp_u_f32_e64 s[46:47], v99, v99                         // 000000005694: D048002E 0002C763
	v_add3_u32 v16, v99, v19, 1                                // 00000000569C: D1FF0010 02062763
	v_cndmask_b32_e64 v5, v16, v18, s[46:47]                   // 0000000056A4: D1000005 00BA2510
	v_perm_b32 v83, v5, v4, s52                                // 0000000056AC: D1ED0053 00D20905
	v_cmp_u_f32_e64 s[46:47], v100, v100                       // 0000000056B4: D048002E 0002C964
	v_add3_u32 v16, v100, v19, 1                               // 0000000056BC: D1FF0010 02062764
	v_cndmask_b32_e64 v4, v16, v18, s[46:47]                   // 0000000056C4: D1000004 00BA2510
	v_cmp_u_f32_e64 s[46:47], v101, v101                       // 0000000056CC: D048002E 0002CB65
	v_add3_u32 v16, v101, v19, 1                               // 0000000056D4: D1FF0010 02062765
	v_cndmask_b32_e64 v5, v16, v18, s[46:47]                   // 0000000056DC: D1000005 00BA2510
	v_perm_b32 v84, v5, v4, s52                                // 0000000056E4: D1ED0054 00D20905
	v_cmp_u_f32_e64 s[46:47], v102, v102                       // 0000000056EC: D048002E 0002CD66
	v_add3_u32 v16, v102, v19, 1                               // 0000000056F4: D1FF0010 02062766
	v_cndmask_b32_e64 v4, v16, v18, s[46:47]                   // 0000000056FC: D1000004 00BA2510
	v_cmp_u_f32_e64 s[46:47], v103, v103                       // 000000005704: D048002E 0002CF67
	v_add3_u32 v16, v103, v19, 1                               // 00000000570C: D1FF0010 02062767
	v_cndmask_b32_e64 v5, v16, v18, s[46:47]                   // 000000005714: D1000005 00BA2510
	v_perm_b32 v85, v5, v4, s52                                // 00000000571C: D1ED0055 00D20905
	v_cmp_u_f32_e64 s[46:47], v104, v104                       // 000000005724: D048002E 0002D168
	v_add3_u32 v16, v104, v19, 1                               // 00000000572C: D1FF0010 02062768
	v_cndmask_b32_e64 v4, v16, v18, s[46:47]                   // 000000005734: D1000004 00BA2510
	v_cmp_u_f32_e64 s[46:47], v105, v105                       // 00000000573C: D048002E 0002D369
	v_add3_u32 v16, v105, v19, 1                               // 000000005744: D1FF0010 02062769
	v_cndmask_b32_e64 v5, v16, v18, s[46:47]                   // 00000000574C: D1000005 00BA2510
	v_perm_b32 v86, v5, v4, s52                                // 000000005754: D1ED0056 00D20905
	v_cmp_u_f32_e64 s[46:47], v106, v106                       // 00000000575C: D048002E 0002D56A
	v_add3_u32 v16, v106, v19, 1                               // 000000005764: D1FF0010 0206276A
	v_cndmask_b32_e64 v4, v16, v18, s[46:47]                   // 00000000576C: D1000004 00BA2510
	v_cmp_u_f32_e64 s[46:47], v107, v107                       // 000000005774: D048002E 0002D76B
	v_add3_u32 v16, v107, v19, 1                               // 00000000577C: D1FF0010 0206276B
	v_cndmask_b32_e64 v5, v16, v18, s[46:47]                   // 000000005784: D1000005 00BA2510
	v_perm_b32 v87, v5, v4, s52                                // 00000000578C: D1ED0057 00D20905
	v_cmp_u_f32_e64 s[46:47], v108, v108                       // 000000005794: D048002E 0002D96C
	v_add3_u32 v16, v108, v19, 1                               // 00000000579C: D1FF0010 0206276C
	v_cndmask_b32_e64 v4, v16, v18, s[46:47]                   // 0000000057A4: D1000004 00BA2510
	v_cmp_u_f32_e64 s[46:47], v109, v109                       // 0000000057AC: D048002E 0002DB6D
	v_add3_u32 v16, v109, v19, 1                               // 0000000057B4: D1FF0010 0206276D
	v_cndmask_b32_e64 v5, v16, v18, s[46:47]                   // 0000000057BC: D1000005 00BA2510
	v_perm_b32 v88, v5, v4, s52                                // 0000000057C4: D1ED0058 00D20905
	v_cmp_u_f32_e64 s[46:47], v110, v110                       // 0000000057CC: D048002E 0002DD6E
	v_add3_u32 v16, v110, v19, 1                               // 0000000057D4: D1FF0010 0206276E
	v_cndmask_b32_e64 v4, v16, v18, s[46:47]                   // 0000000057DC: D1000004 00BA2510
	v_cmp_u_f32_e64 s[46:47], v111, v111                       // 0000000057E4: D048002E 0002DF6F
	v_add3_u32 v16, v111, v19, 1                               // 0000000057EC: D1FF0010 0206276F
	v_cndmask_b32_e64 v5, v16, v18, s[46:47]                   // 0000000057F4: D1000005 00BA2510
	v_perm_b32 v89, v5, v4, s52                                // 0000000057FC: D1ED0059 00D20905
	v_cmp_u_f32_e64 s[46:47], v112, v112                       // 000000005804: D048002E 0002E170
	v_add3_u32 v16, v112, v19, 1                               // 00000000580C: D1FF0010 02062770
	v_cndmask_b32_e64 v4, v16, v18, s[46:47]                   // 000000005814: D1000004 00BA2510
	v_cmp_u_f32_e64 s[46:47], v113, v113                       // 00000000581C: D048002E 0002E371
	v_add3_u32 v16, v113, v19, 1                               // 000000005824: D1FF0010 02062771
	v_cndmask_b32_e64 v5, v16, v18, s[46:47]                   // 00000000582C: D1000005 00BA2510
	v_perm_b32 v90, v5, v4, s52                                // 000000005834: D1ED005A 00D20905
	v_cmp_u_f32_e64 s[46:47], v114, v114                       // 00000000583C: D048002E 0002E572
	v_add3_u32 v16, v114, v19, 1                               // 000000005844: D1FF0010 02062772
	v_cndmask_b32_e64 v4, v16, v18, s[46:47]                   // 00000000584C: D1000004 00BA2510
	v_cmp_u_f32_e64 s[46:47], v115, v115                       // 000000005854: D048002E 0002E773
	v_add3_u32 v16, v115, v19, 1                               // 00000000585C: D1FF0010 02062773
	v_cndmask_b32_e64 v5, v16, v18, s[46:47]                   // 000000005864: D1000005 00BA2510
	v_perm_b32 v91, v5, v4, s52                                // 00000000586C: D1ED005B 00D20905
	ds_write_b64 v20, v[68:69]                                 // 000000005874: D89A0000 00004414
	ds_write_b64 v20, v[70:71] offset:4352                     // 00000000587C: D89A1100 00004614
	ds_write_b64 v20, v[72:73] offset:8704                     // 000000005884: D89A2200 00004814
	ds_write_b64 v20, v[74:75] offset:13056                    // 00000000588C: D89A3300 00004A14
	ds_write_b64 v20, v[76:77] offset:17408                    // 000000005894: D89A4400 00004C14
	ds_write_b64 v20, v[78:79] offset:21760                    // 00000000589C: D89A5500 00004E14
	ds_write_b64 v20, v[80:81] offset:2176                     // 0000000058A4: D89A0880 00005014
	ds_write_b64 v20, v[82:83] offset:6528                     // 0000000058AC: D89A1980 00005214
	ds_write_b64 v20, v[84:85] offset:10880                    // 0000000058B4: D89A2A80 00005414
	ds_write_b64 v20, v[86:87] offset:15232                    // 0000000058BC: D89A3B80 00005614
	ds_write_b64 v20, v[88:89] offset:19584                    // 0000000058C4: D89A4C80 00005814
	ds_write_b64 v20, v[90:91] offset:23936                    // 0000000058CC: D89A5D80 00005A14
	v_lshrrev_b32_e32 v4, 5, v0                                // 0000000058D4: 20080085
	v_xor_b32_e32 v5, 1, v4                                    // 0000000058D8: 2A0A0881
	s_mul_i32 s60, s65, 2                                      // 0000000058DC: 923C8241
	s_cmp_eq_u32 s88, 0                                        // 0000000058E0: BF068058
	s_cselect_b32 s61, 1, 4                                    // 0000000058E4: 853D8481
	s_mul_i32 s60, s61, s60                                    // 0000000058E8: 923C3C3D
	v_readlane_b32 s82, v3, 0                                  // 0000000058EC: D2890052 00010103
	s_lshr_b32 s61, s82, 24                                    // 0000000058F4: 8F3D9852
	s_and_b32 s82, s82, 0xffffff                               // 0000000058F8: 8652FF52 00FFFFFF
	s_mul_i32 s82, s82, s71                                    // 000000005900: 92524752
	s_mul_i32 s61, s60, s61                                    // 000000005904: 923D3D3C
	s_add_u32 s82, s82, s61                                    // 000000005908: 80523D52
	v_mul_lo_u32 v6, v5, s82                                   // 00000000590C: D2850006 0000A505
	v_readlane_b32 s82, v3, 1                                  // 000000005914: D2890052 00010303
	s_lshr_b32 s61, s82, 24                                    // 00000000591C: 8F3D9852
	s_and_b32 s82, s82, 0xffffff                               // 000000005920: 8652FF52 00FFFFFF
	s_mul_i32 s82, s82, s71                                    // 000000005928: 92524752
	s_mul_i32 s61, s60, s61                                    // 00000000592C: 923D3D3C
	s_add_u32 s82, s82, s61                                    // 000000005930: 80523D52
	v_mul_lo_u32 v7, v4, s82                                   // 000000005934: D2850007 0000A504
	v_add_u32_e32 v52, v6, v7                                  // 00000000593C: 68680F06
	v_readlane_b32 s82, v3, 2                                  // 000000005940: D2890052 00010503
	s_lshr_b32 s61, s82, 24                                    // 000000005948: 8F3D9852
	s_and_b32 s82, s82, 0xffffff                               // 00000000594C: 8652FF52 00FFFFFF
	s_mul_i32 s82, s82, s71                                    // 000000005954: 92524752
	s_mul_i32 s61, s60, s61                                    // 000000005958: 923D3D3C
	s_add_u32 s82, s82, s61                                    // 00000000595C: 80523D52
	v_mul_lo_u32 v6, v5, s82                                   // 000000005960: D2850006 0000A505
	v_readlane_b32 s82, v3, 3                                  // 000000005968: D2890052 00010703
	s_lshr_b32 s61, s82, 24                                    // 000000005970: 8F3D9852
	s_and_b32 s82, s82, 0xffffff                               // 000000005974: 8652FF52 00FFFFFF
	s_mul_i32 s82, s82, s71                                    // 00000000597C: 92524752
	s_mul_i32 s61, s60, s61                                    // 000000005980: 923D3D3C
	s_add_u32 s82, s82, s61                                    // 000000005984: 80523D52
	v_mul_lo_u32 v7, v4, s82                                   // 000000005988: D2850007 0000A504
	v_add_u32_e32 v53, v6, v7                                  // 000000005990: 686A0F06
	v_readlane_b32 s82, v3, 4                                  // 000000005994: D2890052 00010903
	s_lshr_b32 s61, s82, 24                                    // 00000000599C: 8F3D9852
	s_and_b32 s82, s82, 0xffffff                               // 0000000059A0: 8652FF52 00FFFFFF
	s_mul_i32 s82, s82, s71                                    // 0000000059A8: 92524752
	s_mul_i32 s61, s60, s61                                    // 0000000059AC: 923D3D3C
	s_add_u32 s82, s82, s61                                    // 0000000059B0: 80523D52
	v_mul_lo_u32 v6, v5, s82                                   // 0000000059B4: D2850006 0000A505
	v_readlane_b32 s82, v3, 5                                  // 0000000059BC: D2890052 00010B03
	s_lshr_b32 s61, s82, 24                                    // 0000000059C4: 8F3D9852
	s_and_b32 s82, s82, 0xffffff                               // 0000000059C8: 8652FF52 00FFFFFF
	s_mul_i32 s82, s82, s71                                    // 0000000059D0: 92524752
	s_mul_i32 s61, s60, s61                                    // 0000000059D4: 923D3D3C
	s_add_u32 s82, s82, s61                                    // 0000000059D8: 80523D52
	v_mul_lo_u32 v7, v4, s82                                   // 0000000059DC: D2850007 0000A504
	v_add_u32_e32 v54, v6, v7                                  // 0000000059E4: 686C0F06
	v_readlane_b32 s82, v3, 6                                  // 0000000059E8: D2890052 00010D03
	s_lshr_b32 s61, s82, 24                                    // 0000000059F0: 8F3D9852
	s_and_b32 s82, s82, 0xffffff                               // 0000000059F4: 8652FF52 00FFFFFF
	s_mul_i32 s82, s82, s71                                    // 0000000059FC: 92524752
	s_mul_i32 s61, s60, s61                                    // 000000005A00: 923D3D3C
	s_add_u32 s82, s82, s61                                    // 000000005A04: 80523D52
	v_mul_lo_u32 v6, v5, s82                                   // 000000005A08: D2850006 0000A505
	v_readlane_b32 s82, v3, 7                                  // 000000005A10: D2890052 00010F03
	s_lshr_b32 s61, s82, 24                                    // 000000005A18: 8F3D9852
	s_and_b32 s82, s82, 0xffffff                               // 000000005A1C: 8652FF52 00FFFFFF
	s_mul_i32 s82, s82, s71                                    // 000000005A24: 92524752
	s_mul_i32 s61, s60, s61                                    // 000000005A28: 923D3D3C
	s_add_u32 s82, s82, s61                                    // 000000005A2C: 80523D52
	v_mul_lo_u32 v7, v4, s82                                   // 000000005A30: D2850007 0000A504
	v_add_u32_e32 v55, v6, v7                                  // 000000005A38: 686E0F06
	v_readlane_b32 s82, v3, 8                                  // 000000005A3C: D2890052 00011103
	s_lshr_b32 s61, s82, 24                                    // 000000005A44: 8F3D9852
	s_and_b32 s82, s82, 0xffffff                               // 000000005A48: 8652FF52 00FFFFFF
	s_mul_i32 s82, s82, s71                                    // 000000005A50: 92524752
	s_mul_i32 s61, s60, s61                                    // 000000005A54: 923D3D3C
	s_add_u32 s82, s82, s61                                    // 000000005A58: 80523D52
	v_mul_lo_u32 v6, v5, s82                                   // 000000005A5C: D2850006 0000A505
	v_readlane_b32 s82, v3, 9                                  // 000000005A64: D2890052 00011303
	s_lshr_b32 s61, s82, 24                                    // 000000005A6C: 8F3D9852
	s_and_b32 s82, s82, 0xffffff                               // 000000005A70: 8652FF52 00FFFFFF
	s_mul_i32 s82, s82, s71                                    // 000000005A78: 92524752
	s_mul_i32 s61, s60, s61                                    // 000000005A7C: 923D3D3C
	s_add_u32 s82, s82, s61                                    // 000000005A80: 80523D52
	v_mul_lo_u32 v7, v4, s82                                   // 000000005A84: D2850007 0000A504
	v_add_u32_e32 v56, v6, v7                                  // 000000005A8C: 68700F06
	v_readlane_b32 s82, v3, 10                                 // 000000005A90: D2890052 00011503
	s_lshr_b32 s61, s82, 24                                    // 000000005A98: 8F3D9852
	s_and_b32 s82, s82, 0xffffff                               // 000000005A9C: 8652FF52 00FFFFFF
	s_mul_i32 s82, s82, s71                                    // 000000005AA4: 92524752
	s_mul_i32 s61, s60, s61                                    // 000000005AA8: 923D3D3C
	s_add_u32 s82, s82, s61                                    // 000000005AAC: 80523D52
	v_mul_lo_u32 v6, v5, s82                                   // 000000005AB0: D2850006 0000A505
	v_readlane_b32 s82, v3, 11                                 // 000000005AB8: D2890052 00011703
	s_lshr_b32 s61, s82, 24                                    // 000000005AC0: 8F3D9852
	s_and_b32 s82, s82, 0xffffff                               // 000000005AC4: 8652FF52 00FFFFFF
	s_mul_i32 s82, s82, s71                                    // 000000005ACC: 92524752
	s_mul_i32 s61, s60, s61                                    // 000000005AD0: 923D3D3C
	s_add_u32 s82, s82, s61                                    // 000000005AD4: 80523D52
	v_mul_lo_u32 v7, v4, s82                                   // 000000005AD8: D2850007 0000A504
	v_add_u32_e32 v57, v6, v7                                  // 000000005AE0: 68720F06
	v_readlane_b32 s82, v3, 12                                 // 000000005AE4: D2890052 00011903
	s_lshr_b32 s61, s82, 24                                    // 000000005AEC: 8F3D9852
	s_and_b32 s82, s82, 0xffffff                               // 000000005AF0: 8652FF52 00FFFFFF
	s_mul_i32 s82, s82, s71                                    // 000000005AF8: 92524752
	s_mul_i32 s61, s60, s61                                    // 000000005AFC: 923D3D3C
	s_add_u32 s82, s82, s61                                    // 000000005B00: 80523D52
	v_mul_lo_u32 v6, v5, s82                                   // 000000005B04: D2850006 0000A505
	v_readlane_b32 s82, v3, 13                                 // 000000005B0C: D2890052 00011B03
	s_lshr_b32 s61, s82, 24                                    // 000000005B14: 8F3D9852
	s_and_b32 s82, s82, 0xffffff                               // 000000005B18: 8652FF52 00FFFFFF
	s_mul_i32 s82, s82, s71                                    // 000000005B20: 92524752
	s_mul_i32 s61, s60, s61                                    // 000000005B24: 923D3D3C
	s_add_u32 s82, s82, s61                                    // 000000005B28: 80523D52
	v_mul_lo_u32 v7, v4, s82                                   // 000000005B2C: D2850007 0000A504
	v_add_u32_e32 v58, v6, v7                                  // 000000005B34: 68740F06
	v_readlane_b32 s82, v3, 14                                 // 000000005B38: D2890052 00011D03
	s_lshr_b32 s61, s82, 24                                    // 000000005B40: 8F3D9852
	s_and_b32 s82, s82, 0xffffff                               // 000000005B44: 8652FF52 00FFFFFF
	s_mul_i32 s82, s82, s71                                    // 000000005B4C: 92524752
	s_mul_i32 s61, s60, s61                                    // 000000005B50: 923D3D3C
	s_add_u32 s82, s82, s61                                    // 000000005B54: 80523D52
	v_mul_lo_u32 v6, v5, s82                                   // 000000005B58: D2850006 0000A505
	v_readlane_b32 s82, v3, 15                                 // 000000005B60: D2890052 00011F03
	s_lshr_b32 s61, s82, 24                                    // 000000005B68: 8F3D9852
	s_and_b32 s82, s82, 0xffffff                               // 000000005B6C: 8652FF52 00FFFFFF
	s_mul_i32 s82, s82, s71                                    // 000000005B74: 92524752
	s_mul_i32 s61, s60, s61                                    // 000000005B78: 923D3D3C
	s_add_u32 s82, s82, s61                                    // 000000005B7C: 80523D52
	v_mul_lo_u32 v7, v4, s82                                   // 000000005B80: D2850007 0000A504
	v_add_u32_e32 v59, v6, v7                                  // 000000005B88: 68760F06
	v_readlane_b32 s82, v3, 16                                 // 000000005B8C: D2890052 00012103
	s_lshr_b32 s61, s82, 24                                    // 000000005B94: 8F3D9852
	s_and_b32 s82, s82, 0xffffff                               // 000000005B98: 8652FF52 00FFFFFF
	s_mul_i32 s82, s82, s71                                    // 000000005BA0: 92524752
	s_mul_i32 s61, s60, s61                                    // 000000005BA4: 923D3D3C
	s_add_u32 s82, s82, s61                                    // 000000005BA8: 80523D52
	v_mul_lo_u32 v6, v5, s82                                   // 000000005BAC: D2850006 0000A505
	v_readlane_b32 s82, v3, 17                                 // 000000005BB4: D2890052 00012303
	s_lshr_b32 s61, s82, 24                                    // 000000005BBC: 8F3D9852
	s_and_b32 s82, s82, 0xffffff                               // 000000005BC0: 8652FF52 00FFFFFF
	s_mul_i32 s82, s82, s71                                    // 000000005BC8: 92524752
	s_mul_i32 s61, s60, s61                                    // 000000005BCC: 923D3D3C
	s_add_u32 s82, s82, s61                                    // 000000005BD0: 80523D52
	v_mul_lo_u32 v7, v4, s82                                   // 000000005BD4: D2850007 0000A504
	v_add_u32_e32 v60, v6, v7                                  // 000000005BDC: 68780F06
	v_readlane_b32 s82, v3, 18                                 // 000000005BE0: D2890052 00012503
	s_lshr_b32 s61, s82, 24                                    // 000000005BE8: 8F3D9852
	s_and_b32 s82, s82, 0xffffff                               // 000000005BEC: 8652FF52 00FFFFFF
	s_mul_i32 s82, s82, s71                                    // 000000005BF4: 92524752
	s_mul_i32 s61, s60, s61                                    // 000000005BF8: 923D3D3C
	s_add_u32 s82, s82, s61                                    // 000000005BFC: 80523D52
	v_mul_lo_u32 v6, v5, s82                                   // 000000005C00: D2850006 0000A505
	v_readlane_b32 s82, v3, 19                                 // 000000005C08: D2890052 00012703
	s_lshr_b32 s61, s82, 24                                    // 000000005C10: 8F3D9852
	s_and_b32 s82, s82, 0xffffff                               // 000000005C14: 8652FF52 00FFFFFF
	s_mul_i32 s82, s82, s71                                    // 000000005C1C: 92524752
	s_mul_i32 s61, s60, s61                                    // 000000005C20: 923D3D3C
	s_add_u32 s82, s82, s61                                    // 000000005C24: 80523D52
	v_mul_lo_u32 v7, v4, s82                                   // 000000005C28: D2850007 0000A504
	v_add_u32_e32 v61, v6, v7                                  // 000000005C30: 687A0F06
	v_readlane_b32 s82, v3, 20                                 // 000000005C34: D2890052 00012903
	s_lshr_b32 s61, s82, 24                                    // 000000005C3C: 8F3D9852
	s_and_b32 s82, s82, 0xffffff                               // 000000005C40: 8652FF52 00FFFFFF
	s_mul_i32 s82, s82, s71                                    // 000000005C48: 92524752
	s_mul_i32 s61, s60, s61                                    // 000000005C4C: 923D3D3C
	s_add_u32 s82, s82, s61                                    // 000000005C50: 80523D52
	v_mul_lo_u32 v6, v5, s82                                   // 000000005C54: D2850006 0000A505
	v_readlane_b32 s82, v3, 21                                 // 000000005C5C: D2890052 00012B03
	s_lshr_b32 s61, s82, 24                                    // 000000005C64: 8F3D9852
	s_and_b32 s82, s82, 0xffffff                               // 000000005C68: 8652FF52 00FFFFFF
	s_mul_i32 s82, s82, s71                                    // 000000005C70: 92524752
	s_mul_i32 s61, s60, s61                                    // 000000005C74: 923D3D3C
	s_add_u32 s82, s82, s61                                    // 000000005C78: 80523D52
	v_mul_lo_u32 v7, v4, s82                                   // 000000005C7C: D2850007 0000A504
	v_add_u32_e32 v62, v6, v7                                  // 000000005C84: 687C0F06
	v_readlane_b32 s82, v3, 22                                 // 000000005C88: D2890052 00012D03
	s_lshr_b32 s61, s82, 24                                    // 000000005C90: 8F3D9852
	s_and_b32 s82, s82, 0xffffff                               // 000000005C94: 8652FF52 00FFFFFF
	s_mul_i32 s82, s82, s71                                    // 000000005C9C: 92524752
	s_mul_i32 s61, s60, s61                                    // 000000005CA0: 923D3D3C
	s_add_u32 s82, s82, s61                                    // 000000005CA4: 80523D52
	v_mul_lo_u32 v6, v5, s82                                   // 000000005CA8: D2850006 0000A505
	v_readlane_b32 s82, v3, 23                                 // 000000005CB0: D2890052 00012F03
	s_lshr_b32 s61, s82, 24                                    // 000000005CB8: 8F3D9852
	s_and_b32 s82, s82, 0xffffff                               // 000000005CBC: 8652FF52 00FFFFFF
	s_mul_i32 s82, s82, s71                                    // 000000005CC4: 92524752
	s_mul_i32 s61, s60, s61                                    // 000000005CC8: 923D3D3C
	s_add_u32 s82, s82, s61                                    // 000000005CCC: 80523D52
	v_mul_lo_u32 v7, v4, s82                                   // 000000005CD0: D2850007 0000A504
	v_add_u32_e32 v63, v6, v7                                  // 000000005CD8: 687E0F06
	v_and_b32_e32 v4, 31, v0                                   // 000000005CDC: 2608009F
	v_lshrrev_b32_e32 v4, 1, v4                                // 000000005CE0: 20080881
	s_cmp_eq_u32 s88, 0                                        // 000000005CE4: BF068058
	s_cselect_b32 s61, 2, 4                                    // 000000005CE8: 853D8482
	v_mul_lo_u32 v4, v4, s61                                   // 000000005CEC: D2850004 00007B04
	v_and_b32_e64 v5, v0, 1                                    // 000000005CF4: D1130005 00010300
	v_add_u32_e32 v4, v4, v5                                   // 000000005CFC: 68080B04
	v_lshlrev_b32_e32 v4, 2, v4                                // 000000005D00: 24080882
	v_add_u32_e32 v52, v52, v4                                 // 000000005D04: 68680934
	v_add_u32_e32 v53, v53, v4                                 // 000000005D08: 686A0935
	v_add_u32_e32 v54, v54, v4                                 // 000000005D0C: 686C0936
	v_add_u32_e32 v55, v55, v4                                 // 000000005D10: 686E0937
	v_add_u32_e32 v56, v56, v4                                 // 000000005D14: 68700938
	v_add_u32_e32 v57, v57, v4                                 // 000000005D18: 68720939
	v_add_u32_e32 v58, v58, v4                                 // 000000005D1C: 6874093A
	v_add_u32_e32 v59, v59, v4                                 // 000000005D20: 6876093B
	v_add_u32_e32 v60, v60, v4                                 // 000000005D24: 6878093C
	v_add_u32_e32 v61, v61, v4                                 // 000000005D28: 687A093D
	v_add_u32_e32 v62, v62, v4                                 // 000000005D2C: 687C093E
	v_add_u32_e32 v63, v63, v4                                 // 000000005D30: 687E093F
	s_waitcnt lgkmcnt(0)                                       // 000000005D34: BF8CC07F
	s_barrier                                                  // 000000005D38: BF8A0000
	ds_read_b32 v68, v21                                       // 000000005D3C: D86C0000 44000015
	ds_read_b32 v69, v21 offset:64                             // 000000005D44: D86C0040 45000015
	ds_read_b32 v70, v21 offset:2176                           // 000000005D4C: D86C0880 46000015
	ds_read_b32 v71, v21 offset:2240                           // 000000005D54: D86C08C0 47000015
	ds_read_b32 v72, v21 offset:4352                           // 000000005D5C: D86C1100 48000015
	ds_read_b32 v73, v21 offset:4416                           // 000000005D64: D86C1140 49000015
	ds_read_b32 v74, v21 offset:6528                           // 000000005D6C: D86C1980 4A000015
	ds_read_b32 v75, v21 offset:6592                           // 000000005D74: D86C19C0 4B000015
	ds_read_b32 v76, v21 offset:8704                           // 000000005D7C: D86C2200 4C000015
	ds_read_b32 v77, v21 offset:8768                           // 000000005D84: D86C2240 4D000015
	ds_read_b32 v78, v21 offset:10880                          // 000000005D8C: D86C2A80 4E000015
	ds_read_b32 v79, v21 offset:10944                          // 000000005D94: D86C2AC0 4F000015
	ds_read_b32 v80, v21 offset:13056                          // 000000005D9C: D86C3300 50000015
	ds_read_b32 v81, v21 offset:13120                          // 000000005DA4: D86C3340 51000015
	ds_read_b32 v82, v21 offset:15232                          // 000000005DAC: D86C3B80 52000015
	ds_read_b32 v83, v21 offset:15296                          // 000000005DB4: D86C3BC0 53000015
	ds_read_b32 v84, v21 offset:17408                          // 000000005DBC: D86C4400 54000015
	ds_read_b32 v85, v21 offset:17472                          // 000000005DC4: D86C4440 55000015
	ds_read_b32 v86, v21 offset:19584                          // 000000005DCC: D86C4C80 56000015
	ds_read_b32 v87, v21 offset:19648                          // 000000005DD4: D86C4CC0 57000015
	ds_read_b32 v88, v21 offset:21760                          // 000000005DDC: D86C5500 58000015
	ds_read_b32 v89, v21 offset:21824                          // 000000005DE4: D86C5540 59000015
	ds_read_b32 v90, v21 offset:23936                          // 000000005DEC: D86C5D80 5A000015
	ds_read_b32 v91, v21 offset:24000                          // 000000005DF4: D86C5DC0 5B000015
	s_waitcnt lgkmcnt(0)                                       // 000000005DFC: BF8CC07F
	s_mov_b32 s36, -1                                          // 000000005E00: BEA400C1
	s_mov_b32 s37, -1                                          // 000000005E04: BEA500C1
	v_mov_b32_e32 v7, 0                                        // 000000005E08: 7E0E0280
	s_or_b32 s9, s9, 0x40000                                   // 000000005E0C: 8709FF09 00040000
	s_mov_b64 exec, s[36:37]                                   // 000000005E14: BEFE0124
	v_mov_b32_e32 v6, v52                                      // 000000005E18: 7E0C0334
	s_mov_b64 s[60:61], 0                                      // 000000005E1C: BEBC0180
	v_readlane_b32 s82, v3, 0                                  // 000000005E20: D2890052 00010103
	s_and_b32 s82, s82, 0xffffff                               // 000000005E28: 8652FF52 00FFFFFF
	s_cmp_lt_u32 s82, s66                                      // 000000005E30: BF0A4252
	s_cselect_b32 s20, s36, s60                                // 000000005E34: 85143C24
	v_readlane_b32 s82, v3, 1                                  // 000000005E38: D2890052 00010303
	s_and_b32 s82, s82, 0xffffff                               // 000000005E40: 8652FF52 00FFFFFF
	s_cmp_lt_u32 s82, s66                                      // 000000005E48: BF0A4252
	s_cselect_b32 s21, s36, s60                                // 000000005E4C: 85153C24
	s_mov_b64 exec, s[20:21]                                   // 000000005E50: BEFE0114
	buffer_store_dword v68, v6, s[8:11], 0 offen               // 000000005E54: E0701000 80024406
	buffer_store_dword v70, v6, s[8:11], 0 offen offset:128    // 000000005E5C: E0701080 80024606
	s_mov_b64 exec, s[36:37]                                   // 000000005E64: BEFE0124
	v_mov_b32_e32 v6, v53                                      // 000000005E68: 7E0C0335
	s_mov_b64 s[60:61], 0                                      // 000000005E6C: BEBC0180
	v_readlane_b32 s82, v3, 2                                  // 000000005E70: D2890052 00010503
	s_and_b32 s82, s82, 0xffffff                               // 000000005E78: 8652FF52 00FFFFFF
	s_cmp_lt_u32 s82, s66                                      // 000000005E80: BF0A4252
	s_cselect_b32 s20, s36, s60                                // 000000005E84: 85143C24
	v_readlane_b32 s82, v3, 3                                  // 000000005E88: D2890052 00010703
	s_and_b32 s82, s82, 0xffffff                               // 000000005E90: 8652FF52 00FFFFFF
	s_cmp_lt_u32 s82, s66                                      // 000000005E98: BF0A4252
	s_cselect_b32 s21, s36, s60                                // 000000005E9C: 85153C24
	s_mov_b64 exec, s[20:21]                                   // 000000005EA0: BEFE0114
	buffer_store_dword v69, v6, s[8:11], 0 offen               // 000000005EA4: E0701000 80024506
	buffer_store_dword v71, v6, s[8:11], 0 offen offset:128    // 000000005EAC: E0701080 80024706
	s_mov_b64 exec, s[36:37]                                   // 000000005EB4: BEFE0124
	v_mov_b32_e32 v6, v54                                      // 000000005EB8: 7E0C0336
	s_mov_b64 s[60:61], 0                                      // 000000005EBC: BEBC0180
	v_readlane_b32 s82, v3, 4                                  // 000000005EC0: D2890052 00010903
	s_and_b32 s82, s82, 0xffffff                               // 000000005EC8: 8652FF52 00FFFFFF
	s_cmp_lt_u32 s82, s66                                      // 000000005ED0: BF0A4252
	s_cselect_b32 s20, s36, s60                                // 000000005ED4: 85143C24
	v_readlane_b32 s82, v3, 5                                  // 000000005ED8: D2890052 00010B03
	s_and_b32 s82, s82, 0xffffff                               // 000000005EE0: 8652FF52 00FFFFFF
	s_cmp_lt_u32 s82, s66                                      // 000000005EE8: BF0A4252
	s_cselect_b32 s21, s36, s60                                // 000000005EEC: 85153C24
	s_mov_b64 exec, s[20:21]                                   // 000000005EF0: BEFE0114
	buffer_store_dword v72, v6, s[8:11], 0 offen               // 000000005EF4: E0701000 80024806
	buffer_store_dword v74, v6, s[8:11], 0 offen offset:128    // 000000005EFC: E0701080 80024A06
	s_mov_b64 exec, s[36:37]                                   // 000000005F04: BEFE0124
	v_mov_b32_e32 v6, v55                                      // 000000005F08: 7E0C0337
	s_mov_b64 s[60:61], 0                                      // 000000005F0C: BEBC0180
	v_readlane_b32 s82, v3, 6                                  // 000000005F10: D2890052 00010D03
	s_and_b32 s82, s82, 0xffffff                               // 000000005F18: 8652FF52 00FFFFFF
	s_cmp_lt_u32 s82, s66                                      // 000000005F20: BF0A4252
	s_cselect_b32 s20, s36, s60                                // 000000005F24: 85143C24
	v_readlane_b32 s82, v3, 7                                  // 000000005F28: D2890052 00010F03
	s_and_b32 s82, s82, 0xffffff                               // 000000005F30: 8652FF52 00FFFFFF
	s_cmp_lt_u32 s82, s66                                      // 000000005F38: BF0A4252
	s_cselect_b32 s21, s36, s60                                // 000000005F3C: 85153C24
	s_mov_b64 exec, s[20:21]                                   // 000000005F40: BEFE0114
	buffer_store_dword v73, v6, s[8:11], 0 offen               // 000000005F44: E0701000 80024906
	buffer_store_dword v75, v6, s[8:11], 0 offen offset:128    // 000000005F4C: E0701080 80024B06
	s_mov_b64 exec, s[36:37]                                   // 000000005F54: BEFE0124
	v_mov_b32_e32 v6, v56                                      // 000000005F58: 7E0C0338
	s_mov_b64 s[60:61], 0                                      // 000000005F5C: BEBC0180
	v_readlane_b32 s82, v3, 8                                  // 000000005F60: D2890052 00011103
	s_and_b32 s82, s82, 0xffffff                               // 000000005F68: 8652FF52 00FFFFFF
	s_cmp_lt_u32 s82, s66                                      // 000000005F70: BF0A4252
	s_cselect_b32 s20, s36, s60                                // 000000005F74: 85143C24
	v_readlane_b32 s82, v3, 9                                  // 000000005F78: D2890052 00011303
	s_and_b32 s82, s82, 0xffffff                               // 000000005F80: 8652FF52 00FFFFFF
	s_cmp_lt_u32 s82, s66                                      // 000000005F88: BF0A4252
	s_cselect_b32 s21, s36, s60                                // 000000005F8C: 85153C24
	s_mov_b64 exec, s[20:21]                                   // 000000005F90: BEFE0114
	buffer_store_dword v76, v6, s[8:11], 0 offen               // 000000005F94: E0701000 80024C06
	buffer_store_dword v78, v6, s[8:11], 0 offen offset:128    // 000000005F9C: E0701080 80024E06
	s_mov_b64 exec, s[36:37]                                   // 000000005FA4: BEFE0124
	v_mov_b32_e32 v6, v57                                      // 000000005FA8: 7E0C0339
	s_mov_b64 s[60:61], 0                                      // 000000005FAC: BEBC0180
	v_readlane_b32 s82, v3, 10                                 // 000000005FB0: D2890052 00011503
	s_and_b32 s82, s82, 0xffffff                               // 000000005FB8: 8652FF52 00FFFFFF
	s_cmp_lt_u32 s82, s66                                      // 000000005FC0: BF0A4252
	s_cselect_b32 s20, s36, s60                                // 000000005FC4: 85143C24
	v_readlane_b32 s82, v3, 11                                 // 000000005FC8: D2890052 00011703
	s_and_b32 s82, s82, 0xffffff                               // 000000005FD0: 8652FF52 00FFFFFF
	s_cmp_lt_u32 s82, s66                                      // 000000005FD8: BF0A4252
	s_cselect_b32 s21, s36, s60                                // 000000005FDC: 85153C24
	s_mov_b64 exec, s[20:21]                                   // 000000005FE0: BEFE0114
	buffer_store_dword v77, v6, s[8:11], 0 offen               // 000000005FE4: E0701000 80024D06
	buffer_store_dword v79, v6, s[8:11], 0 offen offset:128    // 000000005FEC: E0701080 80024F06
	s_mov_b64 exec, s[36:37]                                   // 000000005FF4: BEFE0124
	v_mov_b32_e32 v6, v58                                      // 000000005FF8: 7E0C033A
	s_mov_b64 s[60:61], 0                                      // 000000005FFC: BEBC0180
	v_readlane_b32 s82, v3, 12                                 // 000000006000: D2890052 00011903
	s_and_b32 s82, s82, 0xffffff                               // 000000006008: 8652FF52 00FFFFFF
	s_cmp_lt_u32 s82, s66                                      // 000000006010: BF0A4252
	s_cselect_b32 s20, s36, s60                                // 000000006014: 85143C24
	v_readlane_b32 s82, v3, 13                                 // 000000006018: D2890052 00011B03
	s_and_b32 s82, s82, 0xffffff                               // 000000006020: 8652FF52 00FFFFFF
	s_cmp_lt_u32 s82, s66                                      // 000000006028: BF0A4252
	s_cselect_b32 s21, s36, s60                                // 00000000602C: 85153C24
	s_mov_b64 exec, s[20:21]                                   // 000000006030: BEFE0114
	buffer_store_dword v80, v6, s[8:11], 0 offen               // 000000006034: E0701000 80025006
	buffer_store_dword v82, v6, s[8:11], 0 offen offset:128    // 00000000603C: E0701080 80025206
	s_mov_b64 exec, s[36:37]                                   // 000000006044: BEFE0124
	v_mov_b32_e32 v6, v59                                      // 000000006048: 7E0C033B
	s_mov_b64 s[60:61], 0                                      // 00000000604C: BEBC0180
	v_readlane_b32 s82, v3, 14                                 // 000000006050: D2890052 00011D03
	s_and_b32 s82, s82, 0xffffff                               // 000000006058: 8652FF52 00FFFFFF
	s_cmp_lt_u32 s82, s66                                      // 000000006060: BF0A4252
	s_cselect_b32 s20, s36, s60                                // 000000006064: 85143C24
	v_readlane_b32 s82, v3, 15                                 // 000000006068: D2890052 00011F03
	s_and_b32 s82, s82, 0xffffff                               // 000000006070: 8652FF52 00FFFFFF
	s_cmp_lt_u32 s82, s66                                      // 000000006078: BF0A4252
	s_cselect_b32 s21, s36, s60                                // 00000000607C: 85153C24
	s_mov_b64 exec, s[20:21]                                   // 000000006080: BEFE0114
	buffer_store_dword v81, v6, s[8:11], 0 offen               // 000000006084: E0701000 80025106
	buffer_store_dword v83, v6, s[8:11], 0 offen offset:128    // 00000000608C: E0701080 80025306
	s_mov_b64 exec, s[36:37]                                   // 000000006094: BEFE0124
	v_mov_b32_e32 v6, v60                                      // 000000006098: 7E0C033C
	s_mov_b64 s[60:61], 0                                      // 00000000609C: BEBC0180
	v_readlane_b32 s82, v3, 16                                 // 0000000060A0: D2890052 00012103
	s_and_b32 s82, s82, 0xffffff                               // 0000000060A8: 8652FF52 00FFFFFF
	s_cmp_lt_u32 s82, s66                                      // 0000000060B0: BF0A4252
	s_cselect_b32 s20, s36, s60                                // 0000000060B4: 85143C24
	v_readlane_b32 s82, v3, 17                                 // 0000000060B8: D2890052 00012303
	s_and_b32 s82, s82, 0xffffff                               // 0000000060C0: 8652FF52 00FFFFFF
	s_cmp_lt_u32 s82, s66                                      // 0000000060C8: BF0A4252
	s_cselect_b32 s21, s36, s60                                // 0000000060CC: 85153C24
	s_mov_b64 exec, s[20:21]                                   // 0000000060D0: BEFE0114
	buffer_store_dword v84, v6, s[8:11], 0 offen               // 0000000060D4: E0701000 80025406
	buffer_store_dword v86, v6, s[8:11], 0 offen offset:128    // 0000000060DC: E0701080 80025606
	s_mov_b64 exec, s[36:37]                                   // 0000000060E4: BEFE0124
	v_mov_b32_e32 v6, v61                                      // 0000000060E8: 7E0C033D
	s_mov_b64 s[60:61], 0                                      // 0000000060EC: BEBC0180
	v_readlane_b32 s82, v3, 18                                 // 0000000060F0: D2890052 00012503
	s_and_b32 s82, s82, 0xffffff                               // 0000000060F8: 8652FF52 00FFFFFF
	s_cmp_lt_u32 s82, s66                                      // 000000006100: BF0A4252
	s_cselect_b32 s20, s36, s60                                // 000000006104: 85143C24
	v_readlane_b32 s82, v3, 19                                 // 000000006108: D2890052 00012703
	s_and_b32 s82, s82, 0xffffff                               // 000000006110: 8652FF52 00FFFFFF
	s_cmp_lt_u32 s82, s66                                      // 000000006118: BF0A4252
	s_cselect_b32 s21, s36, s60                                // 00000000611C: 85153C24
	s_mov_b64 exec, s[20:21]                                   // 000000006120: BEFE0114
	buffer_store_dword v85, v6, s[8:11], 0 offen               // 000000006124: E0701000 80025506
	buffer_store_dword v87, v6, s[8:11], 0 offen offset:128    // 00000000612C: E0701080 80025706
	s_mov_b64 exec, s[36:37]                                   // 000000006134: BEFE0124
	v_mov_b32_e32 v6, v62                                      // 000000006138: 7E0C033E
	s_mov_b64 s[60:61], 0                                      // 00000000613C: BEBC0180
	v_readlane_b32 s82, v3, 20                                 // 000000006140: D2890052 00012903
	s_and_b32 s82, s82, 0xffffff                               // 000000006148: 8652FF52 00FFFFFF
	s_cmp_lt_u32 s82, s66                                      // 000000006150: BF0A4252
	s_cselect_b32 s20, s36, s60                                // 000000006154: 85143C24
	v_readlane_b32 s82, v3, 21                                 // 000000006158: D2890052 00012B03
	s_and_b32 s82, s82, 0xffffff                               // 000000006160: 8652FF52 00FFFFFF
	s_cmp_lt_u32 s82, s66                                      // 000000006168: BF0A4252
	s_cselect_b32 s21, s36, s60                                // 00000000616C: 85153C24
	s_mov_b64 exec, s[20:21]                                   // 000000006170: BEFE0114
	buffer_store_dword v88, v6, s[8:11], 0 offen               // 000000006174: E0701000 80025806
	buffer_store_dword v90, v6, s[8:11], 0 offen offset:128    // 00000000617C: E0701080 80025A06
	s_mov_b64 exec, s[36:37]                                   // 000000006184: BEFE0124
	v_mov_b32_e32 v6, v63                                      // 000000006188: 7E0C033F
	s_mov_b64 s[60:61], 0                                      // 00000000618C: BEBC0180
	v_readlane_b32 s82, v3, 22                                 // 000000006190: D2890052 00012D03
	s_and_b32 s82, s82, 0xffffff                               // 000000006198: 8652FF52 00FFFFFF
	s_cmp_lt_u32 s82, s66                                      // 0000000061A0: BF0A4252
	s_cselect_b32 s20, s36, s60                                // 0000000061A4: 85143C24
	v_readlane_b32 s82, v3, 23                                 // 0000000061A8: D2890052 00012F03
	s_and_b32 s82, s82, 0xffffff                               // 0000000061B0: 8652FF52 00FFFFFF
	s_cmp_lt_u32 s82, s66                                      // 0000000061B8: BF0A4252
	s_cselect_b32 s21, s36, s60                                // 0000000061BC: 85153C24
	s_mov_b64 exec, s[20:21]                                   // 0000000061C0: BEFE0114
	buffer_store_dword v89, v6, s[8:11], 0 offen               // 0000000061C4: E0701000 80025906
	buffer_store_dword v91, v6, s[8:11], 0 offen offset:128    // 0000000061CC: E0701080 80025B06
	s_mov_b64 exec, s[36:37]                                   // 0000000061D4: BEFE0124
	s_branch label_251E                                        // 0000000061D8: BF821724

00000000000061dc <label_0DF7>:
	ds_write_b64 v20, v[68:69]                                 // 0000000061DC: D89A0000 00004414
	ds_write_b64 v20, v[72:73] offset:4352                     // 0000000061E4: D89A1100 00004814
	ds_write_b64 v20, v[76:77] offset:8704                     // 0000000061EC: D89A2200 00004C14
	ds_write_b64 v20, v[80:81] offset:13056                    // 0000000061F4: D89A3300 00005014
	ds_write_b64 v20, v[84:85] offset:17408                    // 0000000061FC: D89A4400 00005414
	ds_write_b64 v20, v[88:89] offset:21760                    // 000000006204: D89A5500 00005814
	ds_write_b64 v20, v[92:93] offset:2176                     // 00000000620C: D89A0880 00005C14
	ds_write_b64 v20, v[96:97] offset:6528                     // 000000006214: D89A1980 00006014
	ds_write_b64 v20, v[100:101] offset:10880                  // 00000000621C: D89A2A80 00006414
	ds_write_b64 v20, v[104:105] offset:15232                  // 000000006224: D89A3B80 00006814
	ds_write_b64 v20, v[108:109] offset:19584                  // 00000000622C: D89A4C80 00006C14
	ds_write_b64 v20, v[112:113] offset:23936                  // 000000006234: D89A5D80 00007014
	v_lshrrev_b32_e32 v4, 5, v0                                // 00000000623C: 20080085
	v_xor_b32_e32 v5, 1, v4                                    // 000000006240: 2A0A0881
	s_mul_i32 s60, s65, 2                                      // 000000006244: 923C8241
	s_cmp_eq_u32 s88, 0                                        // 000000006248: BF068058
	s_cselect_b32 s61, 1, 4                                    // 00000000624C: 853D8481
	s_mul_i32 s60, s61, s60                                    // 000000006250: 923C3C3D
	v_readlane_b32 s82, v3, 0                                  // 000000006254: D2890052 00010103
	s_lshr_b32 s61, s82, 24                                    // 00000000625C: 8F3D9852
	s_and_b32 s82, s82, 0xffffff                               // 000000006260: 8652FF52 00FFFFFF
	s_mul_i32 s82, s82, s71                                    // 000000006268: 92524752
	s_mul_i32 s61, s60, s61                                    // 00000000626C: 923D3D3C
	s_add_u32 s82, s82, s61                                    // 000000006270: 80523D52
	v_mul_lo_u32 v6, v5, s82                                   // 000000006274: D2850006 0000A505
	v_readlane_b32 s82, v3, 1                                  // 00000000627C: D2890052 00010303
	s_lshr_b32 s61, s82, 24                                    // 000000006284: 8F3D9852
	s_and_b32 s82, s82, 0xffffff                               // 000000006288: 8652FF52 00FFFFFF
	s_mul_i32 s82, s82, s71                                    // 000000006290: 92524752
	s_mul_i32 s61, s60, s61                                    // 000000006294: 923D3D3C
	s_add_u32 s82, s82, s61                                    // 000000006298: 80523D52
	v_mul_lo_u32 v7, v4, s82                                   // 00000000629C: D2850007 0000A504
	v_add_u32_e32 v52, v6, v7                                  // 0000000062A4: 68680F06
	v_readlane_b32 s82, v3, 2                                  // 0000000062A8: D2890052 00010503
	s_lshr_b32 s61, s82, 24                                    // 0000000062B0: 8F3D9852
	s_and_b32 s82, s82, 0xffffff                               // 0000000062B4: 8652FF52 00FFFFFF
	s_mul_i32 s82, s82, s71                                    // 0000000062BC: 92524752
	s_mul_i32 s61, s60, s61                                    // 0000000062C0: 923D3D3C
	s_add_u32 s82, s82, s61                                    // 0000000062C4: 80523D52
	v_mul_lo_u32 v6, v5, s82                                   // 0000000062C8: D2850006 0000A505
	v_readlane_b32 s82, v3, 3                                  // 0000000062D0: D2890052 00010703
	s_lshr_b32 s61, s82, 24                                    // 0000000062D8: 8F3D9852
	s_and_b32 s82, s82, 0xffffff                               // 0000000062DC: 8652FF52 00FFFFFF
	s_mul_i32 s82, s82, s71                                    // 0000000062E4: 92524752
	s_mul_i32 s61, s60, s61                                    // 0000000062E8: 923D3D3C
	s_add_u32 s82, s82, s61                                    // 0000000062EC: 80523D52
	v_mul_lo_u32 v7, v4, s82                                   // 0000000062F0: D2850007 0000A504
	v_add_u32_e32 v53, v6, v7                                  // 0000000062F8: 686A0F06
	v_readlane_b32 s82, v3, 4                                  // 0000000062FC: D2890052 00010903
	s_lshr_b32 s61, s82, 24                                    // 000000006304: 8F3D9852
	s_and_b32 s82, s82, 0xffffff                               // 000000006308: 8652FF52 00FFFFFF
	s_mul_i32 s82, s82, s71                                    // 000000006310: 92524752
	s_mul_i32 s61, s60, s61                                    // 000000006314: 923D3D3C
	s_add_u32 s82, s82, s61                                    // 000000006318: 80523D52
	v_mul_lo_u32 v6, v5, s82                                   // 00000000631C: D2850006 0000A505
	v_readlane_b32 s82, v3, 5                                  // 000000006324: D2890052 00010B03
	s_lshr_b32 s61, s82, 24                                    // 00000000632C: 8F3D9852
	s_and_b32 s82, s82, 0xffffff                               // 000000006330: 8652FF52 00FFFFFF
	s_mul_i32 s82, s82, s71                                    // 000000006338: 92524752
	s_mul_i32 s61, s60, s61                                    // 00000000633C: 923D3D3C
	s_add_u32 s82, s82, s61                                    // 000000006340: 80523D52
	v_mul_lo_u32 v7, v4, s82                                   // 000000006344: D2850007 0000A504
	v_add_u32_e32 v54, v6, v7                                  // 00000000634C: 686C0F06
	v_readlane_b32 s82, v3, 6                                  // 000000006350: D2890052 00010D03
	s_lshr_b32 s61, s82, 24                                    // 000000006358: 8F3D9852
	s_and_b32 s82, s82, 0xffffff                               // 00000000635C: 8652FF52 00FFFFFF
	s_mul_i32 s82, s82, s71                                    // 000000006364: 92524752
	s_mul_i32 s61, s60, s61                                    // 000000006368: 923D3D3C
	s_add_u32 s82, s82, s61                                    // 00000000636C: 80523D52
	v_mul_lo_u32 v6, v5, s82                                   // 000000006370: D2850006 0000A505
	v_readlane_b32 s82, v3, 7                                  // 000000006378: D2890052 00010F03
	s_lshr_b32 s61, s82, 24                                    // 000000006380: 8F3D9852
	s_and_b32 s82, s82, 0xffffff                               // 000000006384: 8652FF52 00FFFFFF
	s_mul_i32 s82, s82, s71                                    // 00000000638C: 92524752
	s_mul_i32 s61, s60, s61                                    // 000000006390: 923D3D3C
	s_add_u32 s82, s82, s61                                    // 000000006394: 80523D52
	v_mul_lo_u32 v7, v4, s82                                   // 000000006398: D2850007 0000A504
	v_add_u32_e32 v55, v6, v7                                  // 0000000063A0: 686E0F06
	v_readlane_b32 s82, v3, 8                                  // 0000000063A4: D2890052 00011103
	s_lshr_b32 s61, s82, 24                                    // 0000000063AC: 8F3D9852
	s_and_b32 s82, s82, 0xffffff                               // 0000000063B0: 8652FF52 00FFFFFF
	s_mul_i32 s82, s82, s71                                    // 0000000063B8: 92524752
	s_mul_i32 s61, s60, s61                                    // 0000000063BC: 923D3D3C
	s_add_u32 s82, s82, s61                                    // 0000000063C0: 80523D52
	v_mul_lo_u32 v6, v5, s82                                   // 0000000063C4: D2850006 0000A505
	v_readlane_b32 s82, v3, 9                                  // 0000000063CC: D2890052 00011303
	s_lshr_b32 s61, s82, 24                                    // 0000000063D4: 8F3D9852
	s_and_b32 s82, s82, 0xffffff                               // 0000000063D8: 8652FF52 00FFFFFF
	s_mul_i32 s82, s82, s71                                    // 0000000063E0: 92524752
	s_mul_i32 s61, s60, s61                                    // 0000000063E4: 923D3D3C
	s_add_u32 s82, s82, s61                                    // 0000000063E8: 80523D52
	v_mul_lo_u32 v7, v4, s82                                   // 0000000063EC: D2850007 0000A504
	v_add_u32_e32 v56, v6, v7                                  // 0000000063F4: 68700F06
	v_readlane_b32 s82, v3, 10                                 // 0000000063F8: D2890052 00011503
	s_lshr_b32 s61, s82, 24                                    // 000000006400: 8F3D9852
	s_and_b32 s82, s82, 0xffffff                               // 000000006404: 8652FF52 00FFFFFF
	s_mul_i32 s82, s82, s71                                    // 00000000640C: 92524752
	s_mul_i32 s61, s60, s61                                    // 000000006410: 923D3D3C
	s_add_u32 s82, s82, s61                                    // 000000006414: 80523D52
	v_mul_lo_u32 v6, v5, s82                                   // 000000006418: D2850006 0000A505
	v_readlane_b32 s82, v3, 11                                 // 000000006420: D2890052 00011703
	s_lshr_b32 s61, s82, 24                                    // 000000006428: 8F3D9852
	s_and_b32 s82, s82, 0xffffff                               // 00000000642C: 8652FF52 00FFFFFF
	s_mul_i32 s82, s82, s71                                    // 000000006434: 92524752
	s_mul_i32 s61, s60, s61                                    // 000000006438: 923D3D3C
	s_add_u32 s82, s82, s61                                    // 00000000643C: 80523D52
	v_mul_lo_u32 v7, v4, s82                                   // 000000006440: D2850007 0000A504
	v_add_u32_e32 v57, v6, v7                                  // 000000006448: 68720F06
	v_readlane_b32 s82, v3, 12                                 // 00000000644C: D2890052 00011903
	s_lshr_b32 s61, s82, 24                                    // 000000006454: 8F3D9852
	s_and_b32 s82, s82, 0xffffff                               // 000000006458: 8652FF52 00FFFFFF
	s_mul_i32 s82, s82, s71                                    // 000000006460: 92524752
	s_mul_i32 s61, s60, s61                                    // 000000006464: 923D3D3C
	s_add_u32 s82, s82, s61                                    // 000000006468: 80523D52
	v_mul_lo_u32 v6, v5, s82                                   // 00000000646C: D2850006 0000A505
	v_readlane_b32 s82, v3, 13                                 // 000000006474: D2890052 00011B03
	s_lshr_b32 s61, s82, 24                                    // 00000000647C: 8F3D9852
	s_and_b32 s82, s82, 0xffffff                               // 000000006480: 8652FF52 00FFFFFF
	s_mul_i32 s82, s82, s71                                    // 000000006488: 92524752
	s_mul_i32 s61, s60, s61                                    // 00000000648C: 923D3D3C
	s_add_u32 s82, s82, s61                                    // 000000006490: 80523D52
	v_mul_lo_u32 v7, v4, s82                                   // 000000006494: D2850007 0000A504
	v_add_u32_e32 v58, v6, v7                                  // 00000000649C: 68740F06
	v_readlane_b32 s82, v3, 14                                 // 0000000064A0: D2890052 00011D03
	s_lshr_b32 s61, s82, 24                                    // 0000000064A8: 8F3D9852
	s_and_b32 s82, s82, 0xffffff                               // 0000000064AC: 8652FF52 00FFFFFF
	s_mul_i32 s82, s82, s71                                    // 0000000064B4: 92524752
	s_mul_i32 s61, s60, s61                                    // 0000000064B8: 923D3D3C
	s_add_u32 s82, s82, s61                                    // 0000000064BC: 80523D52
	v_mul_lo_u32 v6, v5, s82                                   // 0000000064C0: D2850006 0000A505
	v_readlane_b32 s82, v3, 15                                 // 0000000064C8: D2890052 00011F03
	s_lshr_b32 s61, s82, 24                                    // 0000000064D0: 8F3D9852
	s_and_b32 s82, s82, 0xffffff                               // 0000000064D4: 8652FF52 00FFFFFF
	s_mul_i32 s82, s82, s71                                    // 0000000064DC: 92524752
	s_mul_i32 s61, s60, s61                                    // 0000000064E0: 923D3D3C
	s_add_u32 s82, s82, s61                                    // 0000000064E4: 80523D52
	v_mul_lo_u32 v7, v4, s82                                   // 0000000064E8: D2850007 0000A504
	v_add_u32_e32 v59, v6, v7                                  // 0000000064F0: 68760F06
	v_readlane_b32 s82, v3, 16                                 // 0000000064F4: D2890052 00012103
	s_lshr_b32 s61, s82, 24                                    // 0000000064FC: 8F3D9852
	s_and_b32 s82, s82, 0xffffff                               // 000000006500: 8652FF52 00FFFFFF
	s_mul_i32 s82, s82, s71                                    // 000000006508: 92524752
	s_mul_i32 s61, s60, s61                                    // 00000000650C: 923D3D3C
	s_add_u32 s82, s82, s61                                    // 000000006510: 80523D52
	v_mul_lo_u32 v6, v5, s82                                   // 000000006514: D2850006 0000A505
	v_readlane_b32 s82, v3, 17                                 // 00000000651C: D2890052 00012303
	s_lshr_b32 s61, s82, 24                                    // 000000006524: 8F3D9852
	s_and_b32 s82, s82, 0xffffff                               // 000000006528: 8652FF52 00FFFFFF
	s_mul_i32 s82, s82, s71                                    // 000000006530: 92524752
	s_mul_i32 s61, s60, s61                                    // 000000006534: 923D3D3C
	s_add_u32 s82, s82, s61                                    // 000000006538: 80523D52
	v_mul_lo_u32 v7, v4, s82                                   // 00000000653C: D2850007 0000A504
	v_add_u32_e32 v60, v6, v7                                  // 000000006544: 68780F06
	v_readlane_b32 s82, v3, 18                                 // 000000006548: D2890052 00012503
	s_lshr_b32 s61, s82, 24                                    // 000000006550: 8F3D9852
	s_and_b32 s82, s82, 0xffffff                               // 000000006554: 8652FF52 00FFFFFF
	s_mul_i32 s82, s82, s71                                    // 00000000655C: 92524752
	s_mul_i32 s61, s60, s61                                    // 000000006560: 923D3D3C
	s_add_u32 s82, s82, s61                                    // 000000006564: 80523D52
	v_mul_lo_u32 v6, v5, s82                                   // 000000006568: D2850006 0000A505
	v_readlane_b32 s82, v3, 19                                 // 000000006570: D2890052 00012703
	s_lshr_b32 s61, s82, 24                                    // 000000006578: 8F3D9852
	s_and_b32 s82, s82, 0xffffff                               // 00000000657C: 8652FF52 00FFFFFF
	s_mul_i32 s82, s82, s71                                    // 000000006584: 92524752
	s_mul_i32 s61, s60, s61                                    // 000000006588: 923D3D3C
	s_add_u32 s82, s82, s61                                    // 00000000658C: 80523D52
	v_mul_lo_u32 v7, v4, s82                                   // 000000006590: D2850007 0000A504
	v_add_u32_e32 v61, v6, v7                                  // 000000006598: 687A0F06
	v_readlane_b32 s82, v3, 20                                 // 00000000659C: D2890052 00012903
	s_lshr_b32 s61, s82, 24                                    // 0000000065A4: 8F3D9852
	s_and_b32 s82, s82, 0xffffff                               // 0000000065A8: 8652FF52 00FFFFFF
	s_mul_i32 s82, s82, s71                                    // 0000000065B0: 92524752
	s_mul_i32 s61, s60, s61                                    // 0000000065B4: 923D3D3C
	s_add_u32 s82, s82, s61                                    // 0000000065B8: 80523D52
	v_mul_lo_u32 v6, v5, s82                                   // 0000000065BC: D2850006 0000A505
	v_readlane_b32 s82, v3, 21                                 // 0000000065C4: D2890052 00012B03
	s_lshr_b32 s61, s82, 24                                    // 0000000065CC: 8F3D9852
	s_and_b32 s82, s82, 0xffffff                               // 0000000065D0: 8652FF52 00FFFFFF
	s_mul_i32 s82, s82, s71                                    // 0000000065D8: 92524752
	s_mul_i32 s61, s60, s61                                    // 0000000065DC: 923D3D3C
	s_add_u32 s82, s82, s61                                    // 0000000065E0: 80523D52
	v_mul_lo_u32 v7, v4, s82                                   // 0000000065E4: D2850007 0000A504
	v_add_u32_e32 v62, v6, v7                                  // 0000000065EC: 687C0F06
	v_readlane_b32 s82, v3, 22                                 // 0000000065F0: D2890052 00012D03
	s_lshr_b32 s61, s82, 24                                    // 0000000065F8: 8F3D9852
	s_and_b32 s82, s82, 0xffffff                               // 0000000065FC: 8652FF52 00FFFFFF
	s_mul_i32 s82, s82, s71                                    // 000000006604: 92524752
	s_mul_i32 s61, s60, s61                                    // 000000006608: 923D3D3C
	s_add_u32 s82, s82, s61                                    // 00000000660C: 80523D52
	v_mul_lo_u32 v6, v5, s82                                   // 000000006610: D2850006 0000A505
	v_readlane_b32 s82, v3, 23                                 // 000000006618: D2890052 00012F03
	s_lshr_b32 s61, s82, 24                                    // 000000006620: 8F3D9852
	s_and_b32 s82, s82, 0xffffff                               // 000000006624: 8652FF52 00FFFFFF
	s_mul_i32 s82, s82, s71                                    // 00000000662C: 92524752
	s_mul_i32 s61, s60, s61                                    // 000000006630: 923D3D3C
	s_add_u32 s82, s82, s61                                    // 000000006634: 80523D52
	v_mul_lo_u32 v7, v4, s82                                   // 000000006638: D2850007 0000A504
	v_add_u32_e32 v63, v6, v7                                  // 000000006640: 687E0F06
	v_and_b32_e32 v4, 31, v0                                   // 000000006644: 2608009F
	v_lshrrev_b32_e32 v4, 1, v4                                // 000000006648: 20080881
	s_cmp_eq_u32 s88, 0                                        // 00000000664C: BF068058
	s_cselect_b32 s61, 2, 4                                    // 000000006650: 853D8482
	v_mul_lo_u32 v4, v4, s61                                   // 000000006654: D2850004 00007B04
	v_and_b32_e64 v5, v0, 1                                    // 00000000665C: D1130005 00010300
	v_add_u32_e32 v4, v4, v5                                   // 000000006664: 68080B04
	v_lshlrev_b32_e32 v4, 2, v4                                // 000000006668: 24080882
	v_add_u32_e32 v52, v52, v4                                 // 00000000666C: 68680934
	v_add_u32_e32 v53, v53, v4                                 // 000000006670: 686A0935
	v_add_u32_e32 v54, v54, v4                                 // 000000006674: 686C0936
	v_add_u32_e32 v55, v55, v4                                 // 000000006678: 686E0937
	v_add_u32_e32 v56, v56, v4                                 // 00000000667C: 68700938
	v_add_u32_e32 v57, v57, v4                                 // 000000006680: 68720939
	v_add_u32_e32 v58, v58, v4                                 // 000000006684: 6874093A
	v_add_u32_e32 v59, v59, v4                                 // 000000006688: 6876093B
	v_add_u32_e32 v60, v60, v4                                 // 00000000668C: 6878093C
	v_add_u32_e32 v61, v61, v4                                 // 000000006690: 687A093D
	v_add_u32_e32 v62, v62, v4                                 // 000000006694: 687C093E
	v_add_u32_e32 v63, v63, v4                                 // 000000006698: 687E093F
	s_waitcnt lgkmcnt(0)                                       // 00000000669C: BF8CC07F
	s_barrier                                                  // 0000000066A0: BF8A0000
	ds_read_b32 v68, v21                                       // 0000000066A4: D86C0000 44000015
	ds_read_b32 v69, v21 offset:64                             // 0000000066AC: D86C0040 45000015
	ds_read_b32 v72, v21 offset:2176                           // 0000000066B4: D86C0880 48000015
	ds_read_b32 v73, v21 offset:2240                           // 0000000066BC: D86C08C0 49000015
	ds_read_b32 v76, v21 offset:4352                           // 0000000066C4: D86C1100 4C000015
	ds_read_b32 v77, v21 offset:4416                           // 0000000066CC: D86C1140 4D000015
	ds_read_b32 v80, v21 offset:6528                           // 0000000066D4: D86C1980 50000015
	ds_read_b32 v81, v21 offset:6592                           // 0000000066DC: D86C19C0 51000015
	ds_read_b32 v84, v21 offset:8704                           // 0000000066E4: D86C2200 54000015
	ds_read_b32 v85, v21 offset:8768                           // 0000000066EC: D86C2240 55000015
	ds_read_b32 v88, v21 offset:10880                          // 0000000066F4: D86C2A80 58000015
	ds_read_b32 v89, v21 offset:10944                          // 0000000066FC: D86C2AC0 59000015
	ds_read_b32 v92, v21 offset:13056                          // 000000006704: D86C3300 5C000015
	ds_read_b32 v93, v21 offset:13120                          // 00000000670C: D86C3340 5D000015
	ds_read_b32 v96, v21 offset:15232                          // 000000006714: D86C3B80 60000015
	ds_read_b32 v97, v21 offset:15296                          // 00000000671C: D86C3BC0 61000015
	ds_read_b32 v100, v21 offset:17408                         // 000000006724: D86C4400 64000015
	ds_read_b32 v101, v21 offset:17472                         // 00000000672C: D86C4440 65000015
	ds_read_b32 v104, v21 offset:19584                         // 000000006734: D86C4C80 68000015
	ds_read_b32 v105, v21 offset:19648                         // 00000000673C: D86C4CC0 69000015
	ds_read_b32 v108, v21 offset:21760                         // 000000006744: D86C5500 6C000015
	ds_read_b32 v109, v21 offset:21824                         // 00000000674C: D86C5540 6D000015
	ds_read_b32 v112, v21 offset:23936                         // 000000006754: D86C5D80 70000015
	ds_read_b32 v113, v21 offset:24000                         // 00000000675C: D86C5DC0 71000015
	s_waitcnt lgkmcnt(0)                                       // 000000006764: BF8CC07F
	s_mov_b32 s36, -1                                          // 000000006768: BEA400C1
	s_mov_b32 s37, -1                                          // 00000000676C: BEA500C1
	v_mov_b32_e32 v7, 0                                        // 000000006770: 7E0E0280
	s_mov_b64 exec, s[36:37]                                   // 000000006774: BEFE0124
	v_mov_b32_e32 v6, v52                                      // 000000006778: 7E0C0334
	s_mov_b64 s[60:61], 0                                      // 00000000677C: BEBC0180
	v_readlane_b32 s82, v3, 0                                  // 000000006780: D2890052 00010103
	s_and_b32 s82, s82, 0xffffff                               // 000000006788: 8652FF52 00FFFFFF
	s_cmp_lt_u32 s82, s66                                      // 000000006790: BF0A4252
	s_cselect_b32 s20, s36, s60                                // 000000006794: 85143C24
	v_readlane_b32 s82, v3, 1                                  // 000000006798: D2890052 00010303
	s_and_b32 s82, s82, 0xffffff                               // 0000000067A0: 8652FF52 00FFFFFF
	s_cmp_lt_u32 s82, s66                                      // 0000000067A8: BF0A4252
	s_cselect_b32 s21, s36, s60                                // 0000000067AC: 85153C24
	s_mov_b64 exec, s[20:21]                                   // 0000000067B0: BEFE0114
	global_atomic_add_f32 v6, v68, s[8:9]                      // 0000000067B4: DD348000 00084406
	global_atomic_add_f32 v6, v72, s[8:9] offset:256           // 0000000067BC: DD348100 00084806
	s_mov_b64 exec, s[36:37]                                   // 0000000067C4: BEFE0124
	v_mov_b32_e32 v6, v53                                      // 0000000067C8: 7E0C0335
	s_mov_b64 s[60:61], 0                                      // 0000000067CC: BEBC0180
	v_readlane_b32 s82, v3, 2                                  // 0000000067D0: D2890052 00010503
	s_and_b32 s82, s82, 0xffffff                               // 0000000067D8: 8652FF52 00FFFFFF
	s_cmp_lt_u32 s82, s66                                      // 0000000067E0: BF0A4252
	s_cselect_b32 s20, s36, s60                                // 0000000067E4: 85143C24
	v_readlane_b32 s82, v3, 3                                  // 0000000067E8: D2890052 00010703
	s_and_b32 s82, s82, 0xffffff                               // 0000000067F0: 8652FF52 00FFFFFF
	s_cmp_lt_u32 s82, s66                                      // 0000000067F8: BF0A4252
	s_cselect_b32 s21, s36, s60                                // 0000000067FC: 85153C24
	s_mov_b64 exec, s[20:21]                                   // 000000006800: BEFE0114
	global_atomic_add_f32 v6, v69, s[8:9]                      // 000000006804: DD348000 00084506
	global_atomic_add_f32 v6, v73, s[8:9] offset:256           // 00000000680C: DD348100 00084906
	s_mov_b64 exec, s[36:37]                                   // 000000006814: BEFE0124
	v_mov_b32_e32 v6, v54                                      // 000000006818: 7E0C0336
	s_mov_b64 s[60:61], 0                                      // 00000000681C: BEBC0180
	v_readlane_b32 s82, v3, 4                                  // 000000006820: D2890052 00010903
	s_and_b32 s82, s82, 0xffffff                               // 000000006828: 8652FF52 00FFFFFF
	s_cmp_lt_u32 s82, s66                                      // 000000006830: BF0A4252
	s_cselect_b32 s20, s36, s60                                // 000000006834: 85143C24
	v_readlane_b32 s82, v3, 5                                  // 000000006838: D2890052 00010B03
	s_and_b32 s82, s82, 0xffffff                               // 000000006840: 8652FF52 00FFFFFF
	s_cmp_lt_u32 s82, s66                                      // 000000006848: BF0A4252
	s_cselect_b32 s21, s36, s60                                // 00000000684C: 85153C24
	s_mov_b64 exec, s[20:21]                                   // 000000006850: BEFE0114
	global_atomic_add_f32 v6, v76, s[8:9]                      // 000000006854: DD348000 00084C06
	global_atomic_add_f32 v6, v80, s[8:9] offset:256           // 00000000685C: DD348100 00085006
	s_mov_b64 exec, s[36:37]                                   // 000000006864: BEFE0124
	v_mov_b32_e32 v6, v55                                      // 000000006868: 7E0C0337
	s_mov_b64 s[60:61], 0                                      // 00000000686C: BEBC0180
	v_readlane_b32 s82, v3, 6                                  // 000000006870: D2890052 00010D03
	s_and_b32 s82, s82, 0xffffff                               // 000000006878: 8652FF52 00FFFFFF
	s_cmp_lt_u32 s82, s66                                      // 000000006880: BF0A4252
	s_cselect_b32 s20, s36, s60                                // 000000006884: 85143C24
	v_readlane_b32 s82, v3, 7                                  // 000000006888: D2890052 00010F03
	s_and_b32 s82, s82, 0xffffff                               // 000000006890: 8652FF52 00FFFFFF
	s_cmp_lt_u32 s82, s66                                      // 000000006898: BF0A4252
	s_cselect_b32 s21, s36, s60                                // 00000000689C: 85153C24
	s_mov_b64 exec, s[20:21]                                   // 0000000068A0: BEFE0114
	global_atomic_add_f32 v6, v77, s[8:9]                      // 0000000068A4: DD348000 00084D06
	global_atomic_add_f32 v6, v81, s[8:9] offset:256           // 0000000068AC: DD348100 00085106
	s_mov_b64 exec, s[36:37]                                   // 0000000068B4: BEFE0124
	v_mov_b32_e32 v6, v56                                      // 0000000068B8: 7E0C0338
	s_mov_b64 s[60:61], 0                                      // 0000000068BC: BEBC0180
	v_readlane_b32 s82, v3, 8                                  // 0000000068C0: D2890052 00011103
	s_and_b32 s82, s82, 0xffffff                               // 0000000068C8: 8652FF52 00FFFFFF
	s_cmp_lt_u32 s82, s66                                      // 0000000068D0: BF0A4252
	s_cselect_b32 s20, s36, s60                                // 0000000068D4: 85143C24
	v_readlane_b32 s82, v3, 9                                  // 0000000068D8: D2890052 00011303
	s_and_b32 s82, s82, 0xffffff                               // 0000000068E0: 8652FF52 00FFFFFF
	s_cmp_lt_u32 s82, s66                                      // 0000000068E8: BF0A4252
	s_cselect_b32 s21, s36, s60                                // 0000000068EC: 85153C24
	s_mov_b64 exec, s[20:21]                                   // 0000000068F0: BEFE0114
	global_atomic_add_f32 v6, v84, s[8:9]                      // 0000000068F4: DD348000 00085406
	global_atomic_add_f32 v6, v88, s[8:9] offset:256           // 0000000068FC: DD348100 00085806
	s_mov_b64 exec, s[36:37]                                   // 000000006904: BEFE0124
	v_mov_b32_e32 v6, v57                                      // 000000006908: 7E0C0339
	s_mov_b64 s[60:61], 0                                      // 00000000690C: BEBC0180
	v_readlane_b32 s82, v3, 10                                 // 000000006910: D2890052 00011503
	s_and_b32 s82, s82, 0xffffff                               // 000000006918: 8652FF52 00FFFFFF
	s_cmp_lt_u32 s82, s66                                      // 000000006920: BF0A4252
	s_cselect_b32 s20, s36, s60                                // 000000006924: 85143C24
	v_readlane_b32 s82, v3, 11                                 // 000000006928: D2890052 00011703
	s_and_b32 s82, s82, 0xffffff                               // 000000006930: 8652FF52 00FFFFFF
	s_cmp_lt_u32 s82, s66                                      // 000000006938: BF0A4252
	s_cselect_b32 s21, s36, s60                                // 00000000693C: 85153C24
	s_mov_b64 exec, s[20:21]                                   // 000000006940: BEFE0114
	global_atomic_add_f32 v6, v85, s[8:9]                      // 000000006944: DD348000 00085506
	global_atomic_add_f32 v6, v89, s[8:9] offset:256           // 00000000694C: DD348100 00085906
	s_mov_b64 exec, s[36:37]                                   // 000000006954: BEFE0124
	v_mov_b32_e32 v6, v58                                      // 000000006958: 7E0C033A
	s_mov_b64 s[60:61], 0                                      // 00000000695C: BEBC0180
	v_readlane_b32 s82, v3, 12                                 // 000000006960: D2890052 00011903
	s_and_b32 s82, s82, 0xffffff                               // 000000006968: 8652FF52 00FFFFFF
	s_cmp_lt_u32 s82, s66                                      // 000000006970: BF0A4252
	s_cselect_b32 s20, s36, s60                                // 000000006974: 85143C24
	v_readlane_b32 s82, v3, 13                                 // 000000006978: D2890052 00011B03
	s_and_b32 s82, s82, 0xffffff                               // 000000006980: 8652FF52 00FFFFFF
	s_cmp_lt_u32 s82, s66                                      // 000000006988: BF0A4252
	s_cselect_b32 s21, s36, s60                                // 00000000698C: 85153C24
	s_mov_b64 exec, s[20:21]                                   // 000000006990: BEFE0114
	global_atomic_add_f32 v6, v92, s[8:9]                      // 000000006994: DD348000 00085C06
	global_atomic_add_f32 v6, v96, s[8:9] offset:256           // 00000000699C: DD348100 00086006
	s_mov_b64 exec, s[36:37]                                   // 0000000069A4: BEFE0124
	v_mov_b32_e32 v6, v59                                      // 0000000069A8: 7E0C033B
	s_mov_b64 s[60:61], 0                                      // 0000000069AC: BEBC0180
	v_readlane_b32 s82, v3, 14                                 // 0000000069B0: D2890052 00011D03
	s_and_b32 s82, s82, 0xffffff                               // 0000000069B8: 8652FF52 00FFFFFF
	s_cmp_lt_u32 s82, s66                                      // 0000000069C0: BF0A4252
	s_cselect_b32 s20, s36, s60                                // 0000000069C4: 85143C24
	v_readlane_b32 s82, v3, 15                                 // 0000000069C8: D2890052 00011F03
	s_and_b32 s82, s82, 0xffffff                               // 0000000069D0: 8652FF52 00FFFFFF
	s_cmp_lt_u32 s82, s66                                      // 0000000069D8: BF0A4252
	s_cselect_b32 s21, s36, s60                                // 0000000069DC: 85153C24
	s_mov_b64 exec, s[20:21]                                   // 0000000069E0: BEFE0114
	global_atomic_add_f32 v6, v93, s[8:9]                      // 0000000069E4: DD348000 00085D06
	global_atomic_add_f32 v6, v97, s[8:9] offset:256           // 0000000069EC: DD348100 00086106
	s_mov_b64 exec, s[36:37]                                   // 0000000069F4: BEFE0124
	v_mov_b32_e32 v6, v60                                      // 0000000069F8: 7E0C033C
	s_mov_b64 s[60:61], 0                                      // 0000000069FC: BEBC0180
	v_readlane_b32 s82, v3, 16                                 // 000000006A00: D2890052 00012103
	s_and_b32 s82, s82, 0xffffff                               // 000000006A08: 8652FF52 00FFFFFF
	s_cmp_lt_u32 s82, s66                                      // 000000006A10: BF0A4252
	s_cselect_b32 s20, s36, s60                                // 000000006A14: 85143C24
	v_readlane_b32 s82, v3, 17                                 // 000000006A18: D2890052 00012303
	s_and_b32 s82, s82, 0xffffff                               // 000000006A20: 8652FF52 00FFFFFF
	s_cmp_lt_u32 s82, s66                                      // 000000006A28: BF0A4252
	s_cselect_b32 s21, s36, s60                                // 000000006A2C: 85153C24
	s_mov_b64 exec, s[20:21]                                   // 000000006A30: BEFE0114
	global_atomic_add_f32 v6, v100, s[8:9]                     // 000000006A34: DD348000 00086406
	global_atomic_add_f32 v6, v104, s[8:9] offset:256          // 000000006A3C: DD348100 00086806
	s_mov_b64 exec, s[36:37]                                   // 000000006A44: BEFE0124
	v_mov_b32_e32 v6, v61                                      // 000000006A48: 7E0C033D
	s_mov_b64 s[60:61], 0                                      // 000000006A4C: BEBC0180
	v_readlane_b32 s82, v3, 18                                 // 000000006A50: D2890052 00012503
	s_and_b32 s82, s82, 0xffffff                               // 000000006A58: 8652FF52 00FFFFFF
	s_cmp_lt_u32 s82, s66                                      // 000000006A60: BF0A4252
	s_cselect_b32 s20, s36, s60                                // 000000006A64: 85143C24
	v_readlane_b32 s82, v3, 19                                 // 000000006A68: D2890052 00012703
	s_and_b32 s82, s82, 0xffffff                               // 000000006A70: 8652FF52 00FFFFFF
	s_cmp_lt_u32 s82, s66                                      // 000000006A78: BF0A4252
	s_cselect_b32 s21, s36, s60                                // 000000006A7C: 85153C24
	s_mov_b64 exec, s[20:21]                                   // 000000006A80: BEFE0114
	global_atomic_add_f32 v6, v101, s[8:9]                     // 000000006A84: DD348000 00086506
	global_atomic_add_f32 v6, v105, s[8:9] offset:256          // 000000006A8C: DD348100 00086906
	s_mov_b64 exec, s[36:37]                                   // 000000006A94: BEFE0124
	v_mov_b32_e32 v6, v62                                      // 000000006A98: 7E0C033E
	s_mov_b64 s[60:61], 0                                      // 000000006A9C: BEBC0180
	v_readlane_b32 s82, v3, 20                                 // 000000006AA0: D2890052 00012903
	s_and_b32 s82, s82, 0xffffff                               // 000000006AA8: 8652FF52 00FFFFFF
	s_cmp_lt_u32 s82, s66                                      // 000000006AB0: BF0A4252
	s_cselect_b32 s20, s36, s60                                // 000000006AB4: 85143C24
	v_readlane_b32 s82, v3, 21                                 // 000000006AB8: D2890052 00012B03
	s_and_b32 s82, s82, 0xffffff                               // 000000006AC0: 8652FF52 00FFFFFF
	s_cmp_lt_u32 s82, s66                                      // 000000006AC8: BF0A4252
	s_cselect_b32 s21, s36, s60                                // 000000006ACC: 85153C24
	s_mov_b64 exec, s[20:21]                                   // 000000006AD0: BEFE0114
	global_atomic_add_f32 v6, v108, s[8:9]                     // 000000006AD4: DD348000 00086C06
	global_atomic_add_f32 v6, v112, s[8:9] offset:256          // 000000006ADC: DD348100 00087006
	s_mov_b64 exec, s[36:37]                                   // 000000006AE4: BEFE0124
	v_mov_b32_e32 v6, v63                                      // 000000006AE8: 7E0C033F
	s_mov_b64 s[60:61], 0                                      // 000000006AEC: BEBC0180
	v_readlane_b32 s82, v3, 22                                 // 000000006AF0: D2890052 00012D03
	s_and_b32 s82, s82, 0xffffff                               // 000000006AF8: 8652FF52 00FFFFFF
	s_cmp_lt_u32 s82, s66                                      // 000000006B00: BF0A4252
	s_cselect_b32 s20, s36, s60                                // 000000006B04: 85143C24
	v_readlane_b32 s82, v3, 23                                 // 000000006B08: D2890052 00012F03
	s_and_b32 s82, s82, 0xffffff                               // 000000006B10: 8652FF52 00FFFFFF
	s_cmp_lt_u32 s82, s66                                      // 000000006B18: BF0A4252
	s_cselect_b32 s21, s36, s60                                // 000000006B1C: 85153C24
	s_mov_b64 exec, s[20:21]                                   // 000000006B20: BEFE0114
	global_atomic_add_f32 v6, v109, s[8:9]                     // 000000006B24: DD348000 00086D06
	global_atomic_add_f32 v6, v113, s[8:9] offset:256          // 000000006B2C: DD348100 00087106
	s_mov_b64 exec, s[36:37]                                   // 000000006B34: BEFE0124
	ds_write_b64 v20, v[70:71]                                 // 000000006B38: D89A0000 00004614
	ds_write_b64 v20, v[74:75] offset:4352                     // 000000006B40: D89A1100 00004A14
	ds_write_b64 v20, v[78:79] offset:8704                     // 000000006B48: D89A2200 00004E14
	ds_write_b64 v20, v[82:83] offset:13056                    // 000000006B50: D89A3300 00005214
	ds_write_b64 v20, v[86:87] offset:17408                    // 000000006B58: D89A4400 00005614
	ds_write_b64 v20, v[90:91] offset:21760                    // 000000006B60: D89A5500 00005A14
	ds_write_b64 v20, v[94:95] offset:2176                     // 000000006B68: D89A0880 00005E14
	ds_write_b64 v20, v[98:99] offset:6528                     // 000000006B70: D89A1980 00006214
	ds_write_b64 v20, v[102:103] offset:10880                  // 000000006B78: D89A2A80 00006614
	ds_write_b64 v20, v[106:107] offset:15232                  // 000000006B80: D89A3B80 00006A14
	ds_write_b64 v20, v[110:111] offset:19584                  // 000000006B88: D89A4C80 00006E14
	ds_write_b64 v20, v[114:115] offset:23936                  // 000000006B90: D89A5D80 00007214
	s_waitcnt lgkmcnt(0)                                       // 000000006B98: BF8CC07F
	s_barrier                                                  // 000000006B9C: BF8A0000
	ds_read_b32 v70, v21                                       // 000000006BA0: D86C0000 46000015
	ds_read_b32 v71, v21 offset:64                             // 000000006BA8: D86C0040 47000015
	ds_read_b32 v74, v21 offset:2176                           // 000000006BB0: D86C0880 4A000015
	ds_read_b32 v75, v21 offset:2240                           // 000000006BB8: D86C08C0 4B000015
	ds_read_b32 v78, v21 offset:4352                           // 000000006BC0: D86C1100 4E000015
	ds_read_b32 v79, v21 offset:4416                           // 000000006BC8: D86C1140 4F000015
	ds_read_b32 v82, v21 offset:6528                           // 000000006BD0: D86C1980 52000015
	ds_read_b32 v83, v21 offset:6592                           // 000000006BD8: D86C19C0 53000015
	ds_read_b32 v86, v21 offset:8704                           // 000000006BE0: D86C2200 56000015
	ds_read_b32 v87, v21 offset:8768                           // 000000006BE8: D86C2240 57000015
	ds_read_b32 v90, v21 offset:10880                          // 000000006BF0: D86C2A80 5A000015
	ds_read_b32 v91, v21 offset:10944                          // 000000006BF8: D86C2AC0 5B000015
	ds_read_b32 v94, v21 offset:13056                          // 000000006C00: D86C3300 5E000015
	ds_read_b32 v95, v21 offset:13120                          // 000000006C08: D86C3340 5F000015
	ds_read_b32 v98, v21 offset:15232                          // 000000006C10: D86C3B80 62000015
	ds_read_b32 v99, v21 offset:15296                          // 000000006C18: D86C3BC0 63000015
	ds_read_b32 v102, v21 offset:17408                         // 000000006C20: D86C4400 66000015
	ds_read_b32 v103, v21 offset:17472                         // 000000006C28: D86C4440 67000015
	ds_read_b32 v106, v21 offset:19584                         // 000000006C30: D86C4C80 6A000015
	ds_read_b32 v107, v21 offset:19648                         // 000000006C38: D86C4CC0 6B000015
	ds_read_b32 v110, v21 offset:21760                         // 000000006C40: D86C5500 6E000015
	ds_read_b32 v111, v21 offset:21824                         // 000000006C48: D86C5540 6F000015
	ds_read_b32 v114, v21 offset:23936                         // 000000006C50: D86C5D80 72000015
	ds_read_b32 v115, v21 offset:24000                         // 000000006C58: D86C5DC0 73000015
	s_waitcnt lgkmcnt(0)                                       // 000000006C60: BF8CC07F
	v_mov_b32_e32 v7, 0                                        // 000000006C64: 7E0E0280
	s_mov_b64 exec, s[36:37]                                   // 000000006C68: BEFE0124
	v_mov_b32_e32 v6, v52                                      // 000000006C6C: 7E0C0334
	s_mov_b64 s[60:61], 0                                      // 000000006C70: BEBC0180
	v_readlane_b32 s82, v3, 0                                  // 000000006C74: D2890052 00010103
	s_and_b32 s82, s82, 0xffffff                               // 000000006C7C: 8652FF52 00FFFFFF
	s_cmp_lt_u32 s82, s66                                      // 000000006C84: BF0A4252
	s_cselect_b32 s20, s36, s60                                // 000000006C88: 85143C24
	v_readlane_b32 s82, v3, 1                                  // 000000006C8C: D2890052 00010303
	s_and_b32 s82, s82, 0xffffff                               // 000000006C94: 8652FF52 00FFFFFF
	s_cmp_lt_u32 s82, s66                                      // 000000006C9C: BF0A4252
	s_cselect_b32 s21, s36, s60                                // 000000006CA0: 85153C24
	s_mov_b64 exec, s[20:21]                                   // 000000006CA4: BEFE0114
	global_atomic_add_f32 v6, v70, s[8:9] offset:8             // 000000006CA8: DD348008 00084606
	global_atomic_add_f32 v6, v74, s[8:9] offset:264           // 000000006CB0: DD348108 00084A06
	s_mov_b64 exec, s[36:37]                                   // 000000006CB8: BEFE0124
	v_mov_b32_e32 v6, v53                                      // 000000006CBC: 7E0C0335
	s_mov_b64 s[60:61], 0                                      // 000000006CC0: BEBC0180
	v_readlane_b32 s82, v3, 2                                  // 000000006CC4: D2890052 00010503
	s_and_b32 s82, s82, 0xffffff                               // 000000006CCC: 8652FF52 00FFFFFF
	s_cmp_lt_u32 s82, s66                                      // 000000006CD4: BF0A4252
	s_cselect_b32 s20, s36, s60                                // 000000006CD8: 85143C24
	v_readlane_b32 s82, v3, 3                                  // 000000006CDC: D2890052 00010703
	s_and_b32 s82, s82, 0xffffff                               // 000000006CE4: 8652FF52 00FFFFFF
	s_cmp_lt_u32 s82, s66                                      // 000000006CEC: BF0A4252
	s_cselect_b32 s21, s36, s60                                // 000000006CF0: 85153C24
	s_mov_b64 exec, s[20:21]                                   // 000000006CF4: BEFE0114
	global_atomic_add_f32 v6, v71, s[8:9] offset:8             // 000000006CF8: DD348008 00084706
	global_atomic_add_f32 v6, v75, s[8:9] offset:264           // 000000006D00: DD348108 00084B06
	s_mov_b64 exec, s[36:37]                                   // 000000006D08: BEFE0124
	v_mov_b32_e32 v6, v54                                      // 000000006D0C: 7E0C0336
	s_mov_b64 s[60:61], 0                                      // 000000006D10: BEBC0180
	v_readlane_b32 s82, v3, 4                                  // 000000006D14: D2890052 00010903
	s_and_b32 s82, s82, 0xffffff                               // 000000006D1C: 8652FF52 00FFFFFF
	s_cmp_lt_u32 s82, s66                                      // 000000006D24: BF0A4252
	s_cselect_b32 s20, s36, s60                                // 000000006D28: 85143C24
	v_readlane_b32 s82, v3, 5                                  // 000000006D2C: D2890052 00010B03
	s_and_b32 s82, s82, 0xffffff                               // 000000006D34: 8652FF52 00FFFFFF
	s_cmp_lt_u32 s82, s66                                      // 000000006D3C: BF0A4252
	s_cselect_b32 s21, s36, s60                                // 000000006D40: 85153C24
	s_mov_b64 exec, s[20:21]                                   // 000000006D44: BEFE0114
	global_atomic_add_f32 v6, v78, s[8:9] offset:8             // 000000006D48: DD348008 00084E06
	global_atomic_add_f32 v6, v82, s[8:9] offset:264           // 000000006D50: DD348108 00085206
	s_mov_b64 exec, s[36:37]                                   // 000000006D58: BEFE0124
	v_mov_b32_e32 v6, v55                                      // 000000006D5C: 7E0C0337
	s_mov_b64 s[60:61], 0                                      // 000000006D60: BEBC0180
	v_readlane_b32 s82, v3, 6                                  // 000000006D64: D2890052 00010D03
	s_and_b32 s82, s82, 0xffffff                               // 000000006D6C: 8652FF52 00FFFFFF
	s_cmp_lt_u32 s82, s66                                      // 000000006D74: BF0A4252
	s_cselect_b32 s20, s36, s60                                // 000000006D78: 85143C24
	v_readlane_b32 s82, v3, 7                                  // 000000006D7C: D2890052 00010F03
	s_and_b32 s82, s82, 0xffffff                               // 000000006D84: 8652FF52 00FFFFFF
	s_cmp_lt_u32 s82, s66                                      // 000000006D8C: BF0A4252
	s_cselect_b32 s21, s36, s60                                // 000000006D90: 85153C24
	s_mov_b64 exec, s[20:21]                                   // 000000006D94: BEFE0114
	global_atomic_add_f32 v6, v79, s[8:9] offset:8             // 000000006D98: DD348008 00084F06
	global_atomic_add_f32 v6, v83, s[8:9] offset:264           // 000000006DA0: DD348108 00085306
	s_mov_b64 exec, s[36:37]                                   // 000000006DA8: BEFE0124
	v_mov_b32_e32 v6, v56                                      // 000000006DAC: 7E0C0338
	s_mov_b64 s[60:61], 0                                      // 000000006DB0: BEBC0180
	v_readlane_b32 s82, v3, 8                                  // 000000006DB4: D2890052 00011103
	s_and_b32 s82, s82, 0xffffff                               // 000000006DBC: 8652FF52 00FFFFFF
	s_cmp_lt_u32 s82, s66                                      // 000000006DC4: BF0A4252
	s_cselect_b32 s20, s36, s60                                // 000000006DC8: 85143C24
	v_readlane_b32 s82, v3, 9                                  // 000000006DCC: D2890052 00011303
	s_and_b32 s82, s82, 0xffffff                               // 000000006DD4: 8652FF52 00FFFFFF
	s_cmp_lt_u32 s82, s66                                      // 000000006DDC: BF0A4252
	s_cselect_b32 s21, s36, s60                                // 000000006DE0: 85153C24
	s_mov_b64 exec, s[20:21]                                   // 000000006DE4: BEFE0114
	global_atomic_add_f32 v6, v86, s[8:9] offset:8             // 000000006DE8: DD348008 00085606
	global_atomic_add_f32 v6, v90, s[8:9] offset:264           // 000000006DF0: DD348108 00085A06
	s_mov_b64 exec, s[36:37]                                   // 000000006DF8: BEFE0124
	v_mov_b32_e32 v6, v57                                      // 000000006DFC: 7E0C0339
	s_mov_b64 s[60:61], 0                                      // 000000006E00: BEBC0180
	v_readlane_b32 s82, v3, 10                                 // 000000006E04: D2890052 00011503
	s_and_b32 s82, s82, 0xffffff                               // 000000006E0C: 8652FF52 00FFFFFF
	s_cmp_lt_u32 s82, s66                                      // 000000006E14: BF0A4252
	s_cselect_b32 s20, s36, s60                                // 000000006E18: 85143C24
	v_readlane_b32 s82, v3, 11                                 // 000000006E1C: D2890052 00011703
	s_and_b32 s82, s82, 0xffffff                               // 000000006E24: 8652FF52 00FFFFFF
	s_cmp_lt_u32 s82, s66                                      // 000000006E2C: BF0A4252
	s_cselect_b32 s21, s36, s60                                // 000000006E30: 85153C24
	s_mov_b64 exec, s[20:21]                                   // 000000006E34: BEFE0114
	global_atomic_add_f32 v6, v87, s[8:9] offset:8             // 000000006E38: DD348008 00085706
	global_atomic_add_f32 v6, v91, s[8:9] offset:264           // 000000006E40: DD348108 00085B06
	s_mov_b64 exec, s[36:37]                                   // 000000006E48: BEFE0124
	v_mov_b32_e32 v6, v58                                      // 000000006E4C: 7E0C033A
	s_mov_b64 s[60:61], 0                                      // 000000006E50: BEBC0180
	v_readlane_b32 s82, v3, 12                                 // 000000006E54: D2890052 00011903
	s_and_b32 s82, s82, 0xffffff                               // 000000006E5C: 8652FF52 00FFFFFF
	s_cmp_lt_u32 s82, s66                                      // 000000006E64: BF0A4252
	s_cselect_b32 s20, s36, s60                                // 000000006E68: 85143C24
	v_readlane_b32 s82, v3, 13                                 // 000000006E6C: D2890052 00011B03
	s_and_b32 s82, s82, 0xffffff                               // 000000006E74: 8652FF52 00FFFFFF
	s_cmp_lt_u32 s82, s66                                      // 000000006E7C: BF0A4252
	s_cselect_b32 s21, s36, s60                                // 000000006E80: 85153C24
	s_mov_b64 exec, s[20:21]                                   // 000000006E84: BEFE0114
	global_atomic_add_f32 v6, v94, s[8:9] offset:8             // 000000006E88: DD348008 00085E06
	global_atomic_add_f32 v6, v98, s[8:9] offset:264           // 000000006E90: DD348108 00086206
	s_mov_b64 exec, s[36:37]                                   // 000000006E98: BEFE0124
	v_mov_b32_e32 v6, v59                                      // 000000006E9C: 7E0C033B
	s_mov_b64 s[60:61], 0                                      // 000000006EA0: BEBC0180
	v_readlane_b32 s82, v3, 14                                 // 000000006EA4: D2890052 00011D03
	s_and_b32 s82, s82, 0xffffff                               // 000000006EAC: 8652FF52 00FFFFFF
	s_cmp_lt_u32 s82, s66                                      // 000000006EB4: BF0A4252
	s_cselect_b32 s20, s36, s60                                // 000000006EB8: 85143C24
	v_readlane_b32 s82, v3, 15                                 // 000000006EBC: D2890052 00011F03
	s_and_b32 s82, s82, 0xffffff                               // 000000006EC4: 8652FF52 00FFFFFF
	s_cmp_lt_u32 s82, s66                                      // 000000006ECC: BF0A4252
	s_cselect_b32 s21, s36, s60                                // 000000006ED0: 85153C24
	s_mov_b64 exec, s[20:21]                                   // 000000006ED4: BEFE0114
	global_atomic_add_f32 v6, v95, s[8:9] offset:8             // 000000006ED8: DD348008 00085F06
	global_atomic_add_f32 v6, v99, s[8:9] offset:264           // 000000006EE0: DD348108 00086306
	s_mov_b64 exec, s[36:37]                                   // 000000006EE8: BEFE0124
	v_mov_b32_e32 v6, v60                                      // 000000006EEC: 7E0C033C
	s_mov_b64 s[60:61], 0                                      // 000000006EF0: BEBC0180
	v_readlane_b32 s82, v3, 16                                 // 000000006EF4: D2890052 00012103
	s_and_b32 s82, s82, 0xffffff                               // 000000006EFC: 8652FF52 00FFFFFF
	s_cmp_lt_u32 s82, s66                                      // 000000006F04: BF0A4252
	s_cselect_b32 s20, s36, s60                                // 000000006F08: 85143C24
	v_readlane_b32 s82, v3, 17                                 // 000000006F0C: D2890052 00012303
	s_and_b32 s82, s82, 0xffffff                               // 000000006F14: 8652FF52 00FFFFFF
	s_cmp_lt_u32 s82, s66                                      // 000000006F1C: BF0A4252
	s_cselect_b32 s21, s36, s60                                // 000000006F20: 85153C24
	s_mov_b64 exec, s[20:21]                                   // 000000006F24: BEFE0114
	global_atomic_add_f32 v6, v102, s[8:9] offset:8            // 000000006F28: DD348008 00086606
	global_atomic_add_f32 v6, v106, s[8:9] offset:264          // 000000006F30: DD348108 00086A06
	s_mov_b64 exec, s[36:37]                                   // 000000006F38: BEFE0124
	v_mov_b32_e32 v6, v61                                      // 000000006F3C: 7E0C033D
	s_mov_b64 s[60:61], 0                                      // 000000006F40: BEBC0180
	v_readlane_b32 s82, v3, 18                                 // 000000006F44: D2890052 00012503
	s_and_b32 s82, s82, 0xffffff                               // 000000006F4C: 8652FF52 00FFFFFF
	s_cmp_lt_u32 s82, s66                                      // 000000006F54: BF0A4252
	s_cselect_b32 s20, s36, s60                                // 000000006F58: 85143C24
	v_readlane_b32 s82, v3, 19                                 // 000000006F5C: D2890052 00012703
	s_and_b32 s82, s82, 0xffffff                               // 000000006F64: 8652FF52 00FFFFFF
	s_cmp_lt_u32 s82, s66                                      // 000000006F6C: BF0A4252
	s_cselect_b32 s21, s36, s60                                // 000000006F70: 85153C24
	s_mov_b64 exec, s[20:21]                                   // 000000006F74: BEFE0114
	global_atomic_add_f32 v6, v103, s[8:9] offset:8            // 000000006F78: DD348008 00086706
	global_atomic_add_f32 v6, v107, s[8:9] offset:264          // 000000006F80: DD348108 00086B06
	s_mov_b64 exec, s[36:37]                                   // 000000006F88: BEFE0124
	v_mov_b32_e32 v6, v62                                      // 000000006F8C: 7E0C033E
	s_mov_b64 s[60:61], 0                                      // 000000006F90: BEBC0180
	v_readlane_b32 s82, v3, 20                                 // 000000006F94: D2890052 00012903
	s_and_b32 s82, s82, 0xffffff                               // 000000006F9C: 8652FF52 00FFFFFF
	s_cmp_lt_u32 s82, s66                                      // 000000006FA4: BF0A4252
	s_cselect_b32 s20, s36, s60                                // 000000006FA8: 85143C24
	v_readlane_b32 s82, v3, 21                                 // 000000006FAC: D2890052 00012B03
	s_and_b32 s82, s82, 0xffffff                               // 000000006FB4: 8652FF52 00FFFFFF
	s_cmp_lt_u32 s82, s66                                      // 000000006FBC: BF0A4252
	s_cselect_b32 s21, s36, s60                                // 000000006FC0: 85153C24
	s_mov_b64 exec, s[20:21]                                   // 000000006FC4: BEFE0114
	global_atomic_add_f32 v6, v110, s[8:9] offset:8            // 000000006FC8: DD348008 00086E06
	global_atomic_add_f32 v6, v114, s[8:9] offset:264          // 000000006FD0: DD348108 00087206
	s_mov_b64 exec, s[36:37]                                   // 000000006FD8: BEFE0124
	v_mov_b32_e32 v6, v63                                      // 000000006FDC: 7E0C033F
	s_mov_b64 s[60:61], 0                                      // 000000006FE0: BEBC0180
	v_readlane_b32 s82, v3, 22                                 // 000000006FE4: D2890052 00012D03
	s_and_b32 s82, s82, 0xffffff                               // 000000006FEC: 8652FF52 00FFFFFF
	s_cmp_lt_u32 s82, s66                                      // 000000006FF4: BF0A4252
	s_cselect_b32 s20, s36, s60                                // 000000006FF8: 85143C24
	v_readlane_b32 s82, v3, 23                                 // 000000006FFC: D2890052 00012F03
	s_and_b32 s82, s82, 0xffffff                               // 000000007004: 8652FF52 00FFFFFF
	s_cmp_lt_u32 s82, s66                                      // 00000000700C: BF0A4252
	s_cselect_b32 s21, s36, s60                                // 000000007010: 85153C24
	s_mov_b64 exec, s[20:21]                                   // 000000007014: BEFE0114
	global_atomic_add_f32 v6, v111, s[8:9] offset:8            // 000000007018: DD348008 00086F06
	global_atomic_add_f32 v6, v115, s[8:9] offset:264          // 000000007020: DD348108 00087306
	s_mov_b64 exec, s[36:37]                                   // 000000007028: BEFE0124
	ds_write_b64 v20, v[116:117]                               // 00000000702C: D89A0000 00007414
	ds_write_b64 v20, v[120:121] offset:4352                   // 000000007034: D89A1100 00007814
	ds_write_b64 v20, v[124:125] offset:8704                   // 00000000703C: D89A2200 00007C14
	ds_write_b64 v20, v[128:129] offset:13056                  // 000000007044: D89A3300 00008014
	ds_write_b64 v20, v[132:133] offset:17408                  // 00000000704C: D89A4400 00008414
	ds_write_b64 v20, v[136:137] offset:21760                  // 000000007054: D89A5500 00008814
	ds_write_b64 v20, v[140:141] offset:2176                   // 00000000705C: D89A0880 00008C14
	ds_write_b64 v20, v[144:145] offset:6528                   // 000000007064: D89A1980 00009014
	ds_write_b64 v20, v[148:149] offset:10880                  // 00000000706C: D89A2A80 00009414
	ds_write_b64 v20, v[152:153] offset:15232                  // 000000007074: D89A3B80 00009814
	ds_write_b64 v20, v[156:157] offset:19584                  // 00000000707C: D89A4C80 00009C14
	ds_write_b64 v20, v[160:161] offset:23936                  // 000000007084: D89A5D80 0000A014
	s_waitcnt lgkmcnt(0)                                       // 00000000708C: BF8CC07F
	s_barrier                                                  // 000000007090: BF8A0000
	ds_read_b32 v116, v21                                      // 000000007094: D86C0000 74000015
	ds_read_b32 v117, v21 offset:64                            // 00000000709C: D86C0040 75000015
	ds_read_b32 v120, v21 offset:2176                          // 0000000070A4: D86C0880 78000015
	ds_read_b32 v121, v21 offset:2240                          // 0000000070AC: D86C08C0 79000015
	ds_read_b32 v124, v21 offset:4352                          // 0000000070B4: D86C1100 7C000015
	ds_read_b32 v125, v21 offset:4416                          // 0000000070BC: D86C1140 7D000015
	ds_read_b32 v128, v21 offset:6528                          // 0000000070C4: D86C1980 80000015
	ds_read_b32 v129, v21 offset:6592                          // 0000000070CC: D86C19C0 81000015
	ds_read_b32 v132, v21 offset:8704                          // 0000000070D4: D86C2200 84000015
	ds_read_b32 v133, v21 offset:8768                          // 0000000070DC: D86C2240 85000015
	ds_read_b32 v136, v21 offset:10880                         // 0000000070E4: D86C2A80 88000015
	ds_read_b32 v137, v21 offset:10944                         // 0000000070EC: D86C2AC0 89000015
	ds_read_b32 v140, v21 offset:13056                         // 0000000070F4: D86C3300 8C000015
	ds_read_b32 v141, v21 offset:13120                         // 0000000070FC: D86C3340 8D000015
	ds_read_b32 v144, v21 offset:15232                         // 000000007104: D86C3B80 90000015
	ds_read_b32 v145, v21 offset:15296                         // 00000000710C: D86C3BC0 91000015
	ds_read_b32 v148, v21 offset:17408                         // 000000007114: D86C4400 94000015
	ds_read_b32 v149, v21 offset:17472                         // 00000000711C: D86C4440 95000015
	ds_read_b32 v152, v21 offset:19584                         // 000000007124: D86C4C80 98000015
	ds_read_b32 v153, v21 offset:19648                         // 00000000712C: D86C4CC0 99000015
	ds_read_b32 v156, v21 offset:21760                         // 000000007134: D86C5500 9C000015
	ds_read_b32 v157, v21 offset:21824                         // 00000000713C: D86C5540 9D000015
	ds_read_b32 v160, v21 offset:23936                         // 000000007144: D86C5D80 A0000015
	ds_read_b32 v161, v21 offset:24000                         // 00000000714C: D86C5DC0 A1000015
	s_mul_i32 s60, s65, 4                                      // 000000007154: 923C8441
	s_add_u32 s8, s60, s8                                      // 000000007158: 8008083C
	s_addc_u32 s9, 0, s9                                       // 00000000715C: 82090980
	s_waitcnt lgkmcnt(0)                                       // 000000007160: BF8CC07F
	v_mov_b32_e32 v7, 0                                        // 000000007164: 7E0E0280
	s_mov_b64 exec, s[36:37]                                   // 000000007168: BEFE0124
	v_mov_b32_e32 v6, v52                                      // 00000000716C: 7E0C0334
	s_mov_b64 s[60:61], 0                                      // 000000007170: BEBC0180
	v_readlane_b32 s82, v3, 0                                  // 000000007174: D2890052 00010103
	s_and_b32 s82, s82, 0xffffff                               // 00000000717C: 8652FF52 00FFFFFF
	s_cmp_lt_u32 s82, s66                                      // 000000007184: BF0A4252
	s_cselect_b32 s20, s36, s60                                // 000000007188: 85143C24
	v_readlane_b32 s82, v3, 1                                  // 00000000718C: D2890052 00010303
	s_and_b32 s82, s82, 0xffffff                               // 000000007194: 8652FF52 00FFFFFF
	s_cmp_lt_u32 s82, s66                                      // 00000000719C: BF0A4252
	s_cselect_b32 s21, s36, s60                                // 0000000071A0: 85153C24
	s_mov_b64 exec, s[20:21]                                   // 0000000071A4: BEFE0114
	global_atomic_add_f32 v6, v116, s[8:9]                     // 0000000071A8: DD348000 00087406
	global_atomic_add_f32 v6, v120, s[8:9] offset:256          // 0000000071B0: DD348100 00087806
	s_mov_b64 exec, s[36:37]                                   // 0000000071B8: BEFE0124
	v_mov_b32_e32 v6, v53                                      // 0000000071BC: 7E0C0335
	s_mov_b64 s[60:61], 0                                      // 0000000071C0: BEBC0180
	v_readlane_b32 s82, v3, 2                                  // 0000000071C4: D2890052 00010503
	s_and_b32 s82, s82, 0xffffff                               // 0000000071CC: 8652FF52 00FFFFFF
	s_cmp_lt_u32 s82, s66                                      // 0000000071D4: BF0A4252
	s_cselect_b32 s20, s36, s60                                // 0000000071D8: 85143C24
	v_readlane_b32 s82, v3, 3                                  // 0000000071DC: D2890052 00010703
	s_and_b32 s82, s82, 0xffffff                               // 0000000071E4: 8652FF52 00FFFFFF
	s_cmp_lt_u32 s82, s66                                      // 0000000071EC: BF0A4252
	s_cselect_b32 s21, s36, s60                                // 0000000071F0: 85153C24
	s_mov_b64 exec, s[20:21]                                   // 0000000071F4: BEFE0114
	global_atomic_add_f32 v6, v117, s[8:9]                     // 0000000071F8: DD348000 00087506
	global_atomic_add_f32 v6, v121, s[8:9] offset:256          // 000000007200: DD348100 00087906
	s_mov_b64 exec, s[36:37]                                   // 000000007208: BEFE0124
	v_mov_b32_e32 v6, v54                                      // 00000000720C: 7E0C0336
	s_mov_b64 s[60:61], 0                                      // 000000007210: BEBC0180
	v_readlane_b32 s82, v3, 4                                  // 000000007214: D2890052 00010903
	s_and_b32 s82, s82, 0xffffff                               // 00000000721C: 8652FF52 00FFFFFF
	s_cmp_lt_u32 s82, s66                                      // 000000007224: BF0A4252
	s_cselect_b32 s20, s36, s60                                // 000000007228: 85143C24
	v_readlane_b32 s82, v3, 5                                  // 00000000722C: D2890052 00010B03
	s_and_b32 s82, s82, 0xffffff                               // 000000007234: 8652FF52 00FFFFFF
	s_cmp_lt_u32 s82, s66                                      // 00000000723C: BF0A4252
	s_cselect_b32 s21, s36, s60                                // 000000007240: 85153C24
	s_mov_b64 exec, s[20:21]                                   // 000000007244: BEFE0114
	global_atomic_add_f32 v6, v124, s[8:9]                     // 000000007248: DD348000 00087C06
	global_atomic_add_f32 v6, v128, s[8:9] offset:256          // 000000007250: DD348100 00088006
	s_mov_b64 exec, s[36:37]                                   // 000000007258: BEFE0124
	v_mov_b32_e32 v6, v55                                      // 00000000725C: 7E0C0337
	s_mov_b64 s[60:61], 0                                      // 000000007260: BEBC0180
	v_readlane_b32 s82, v3, 6                                  // 000000007264: D2890052 00010D03
	s_and_b32 s82, s82, 0xffffff                               // 00000000726C: 8652FF52 00FFFFFF
	s_cmp_lt_u32 s82, s66                                      // 000000007274: BF0A4252
	s_cselect_b32 s20, s36, s60                                // 000000007278: 85143C24
	v_readlane_b32 s82, v3, 7                                  // 00000000727C: D2890052 00010F03
	s_and_b32 s82, s82, 0xffffff                               // 000000007284: 8652FF52 00FFFFFF
	s_cmp_lt_u32 s82, s66                                      // 00000000728C: BF0A4252
	s_cselect_b32 s21, s36, s60                                // 000000007290: 85153C24
	s_mov_b64 exec, s[20:21]                                   // 000000007294: BEFE0114
	global_atomic_add_f32 v6, v125, s[8:9]                     // 000000007298: DD348000 00087D06
	global_atomic_add_f32 v6, v129, s[8:9] offset:256          // 0000000072A0: DD348100 00088106
	s_mov_b64 exec, s[36:37]                                   // 0000000072A8: BEFE0124
	v_mov_b32_e32 v6, v56                                      // 0000000072AC: 7E0C0338
	s_mov_b64 s[60:61], 0                                      // 0000000072B0: BEBC0180
	v_readlane_b32 s82, v3, 8                                  // 0000000072B4: D2890052 00011103
	s_and_b32 s82, s82, 0xffffff                               // 0000000072BC: 8652FF52 00FFFFFF
	s_cmp_lt_u32 s82, s66                                      // 0000000072C4: BF0A4252
	s_cselect_b32 s20, s36, s60                                // 0000000072C8: 85143C24
	v_readlane_b32 s82, v3, 9                                  // 0000000072CC: D2890052 00011303
	s_and_b32 s82, s82, 0xffffff                               // 0000000072D4: 8652FF52 00FFFFFF
	s_cmp_lt_u32 s82, s66                                      // 0000000072DC: BF0A4252
	s_cselect_b32 s21, s36, s60                                // 0000000072E0: 85153C24
	s_mov_b64 exec, s[20:21]                                   // 0000000072E4: BEFE0114
	global_atomic_add_f32 v6, v132, s[8:9]                     // 0000000072E8: DD348000 00088406
	global_atomic_add_f32 v6, v136, s[8:9] offset:256          // 0000000072F0: DD348100 00088806
	s_mov_b64 exec, s[36:37]                                   // 0000000072F8: BEFE0124
	v_mov_b32_e32 v6, v57                                      // 0000000072FC: 7E0C0339
	s_mov_b64 s[60:61], 0                                      // 000000007300: BEBC0180
	v_readlane_b32 s82, v3, 10                                 // 000000007304: D2890052 00011503
	s_and_b32 s82, s82, 0xffffff                               // 00000000730C: 8652FF52 00FFFFFF
	s_cmp_lt_u32 s82, s66                                      // 000000007314: BF0A4252
	s_cselect_b32 s20, s36, s60                                // 000000007318: 85143C24
	v_readlane_b32 s82, v3, 11                                 // 00000000731C: D2890052 00011703
	s_and_b32 s82, s82, 0xffffff                               // 000000007324: 8652FF52 00FFFFFF
	s_cmp_lt_u32 s82, s66                                      // 00000000732C: BF0A4252
	s_cselect_b32 s21, s36, s60                                // 000000007330: 85153C24
	s_mov_b64 exec, s[20:21]                                   // 000000007334: BEFE0114
	global_atomic_add_f32 v6, v133, s[8:9]                     // 000000007338: DD348000 00088506
	global_atomic_add_f32 v6, v137, s[8:9] offset:256          // 000000007340: DD348100 00088906
	s_mov_b64 exec, s[36:37]                                   // 000000007348: BEFE0124
	v_mov_b32_e32 v6, v58                                      // 00000000734C: 7E0C033A
	s_mov_b64 s[60:61], 0                                      // 000000007350: BEBC0180
	v_readlane_b32 s82, v3, 12                                 // 000000007354: D2890052 00011903
	s_and_b32 s82, s82, 0xffffff                               // 00000000735C: 8652FF52 00FFFFFF
	s_cmp_lt_u32 s82, s66                                      // 000000007364: BF0A4252
	s_cselect_b32 s20, s36, s60                                // 000000007368: 85143C24
	v_readlane_b32 s82, v3, 13                                 // 00000000736C: D2890052 00011B03
	s_and_b32 s82, s82, 0xffffff                               // 000000007374: 8652FF52 00FFFFFF
	s_cmp_lt_u32 s82, s66                                      // 00000000737C: BF0A4252
	s_cselect_b32 s21, s36, s60                                // 000000007380: 85153C24
	s_mov_b64 exec, s[20:21]                                   // 000000007384: BEFE0114
	global_atomic_add_f32 v6, v140, s[8:9]                     // 000000007388: DD348000 00088C06
	global_atomic_add_f32 v6, v144, s[8:9] offset:256          // 000000007390: DD348100 00089006
	s_mov_b64 exec, s[36:37]                                   // 000000007398: BEFE0124
	v_mov_b32_e32 v6, v59                                      // 00000000739C: 7E0C033B
	s_mov_b64 s[60:61], 0                                      // 0000000073A0: BEBC0180
	v_readlane_b32 s82, v3, 14                                 // 0000000073A4: D2890052 00011D03
	s_and_b32 s82, s82, 0xffffff                               // 0000000073AC: 8652FF52 00FFFFFF
	s_cmp_lt_u32 s82, s66                                      // 0000000073B4: BF0A4252
	s_cselect_b32 s20, s36, s60                                // 0000000073B8: 85143C24
	v_readlane_b32 s82, v3, 15                                 // 0000000073BC: D2890052 00011F03
	s_and_b32 s82, s82, 0xffffff                               // 0000000073C4: 8652FF52 00FFFFFF
	s_cmp_lt_u32 s82, s66                                      // 0000000073CC: BF0A4252
	s_cselect_b32 s21, s36, s60                                // 0000000073D0: 85153C24
	s_mov_b64 exec, s[20:21]                                   // 0000000073D4: BEFE0114
	global_atomic_add_f32 v6, v141, s[8:9]                     // 0000000073D8: DD348000 00088D06
	global_atomic_add_f32 v6, v145, s[8:9] offset:256          // 0000000073E0: DD348100 00089106
	s_mov_b64 exec, s[36:37]                                   // 0000000073E8: BEFE0124
	v_mov_b32_e32 v6, v60                                      // 0000000073EC: 7E0C033C
	s_mov_b64 s[60:61], 0                                      // 0000000073F0: BEBC0180
	v_readlane_b32 s82, v3, 16                                 // 0000000073F4: D2890052 00012103
	s_and_b32 s82, s82, 0xffffff                               // 0000000073FC: 8652FF52 00FFFFFF
	s_cmp_lt_u32 s82, s66                                      // 000000007404: BF0A4252
	s_cselect_b32 s20, s36, s60                                // 000000007408: 85143C24
	v_readlane_b32 s82, v3, 17                                 // 00000000740C: D2890052 00012303
	s_and_b32 s82, s82, 0xffffff                               // 000000007414: 8652FF52 00FFFFFF
	s_cmp_lt_u32 s82, s66                                      // 00000000741C: BF0A4252
	s_cselect_b32 s21, s36, s60                                // 000000007420: 85153C24
	s_mov_b64 exec, s[20:21]                                   // 000000007424: BEFE0114
	global_atomic_add_f32 v6, v148, s[8:9]                     // 000000007428: DD348000 00089406
	global_atomic_add_f32 v6, v152, s[8:9] offset:256          // 000000007430: DD348100 00089806
	s_mov_b64 exec, s[36:37]                                   // 000000007438: BEFE0124
	v_mov_b32_e32 v6, v61                                      // 00000000743C: 7E0C033D
	s_mov_b64 s[60:61], 0                                      // 000000007440: BEBC0180
	v_readlane_b32 s82, v3, 18                                 // 000000007444: D2890052 00012503
	s_and_b32 s82, s82, 0xffffff                               // 00000000744C: 8652FF52 00FFFFFF
	s_cmp_lt_u32 s82, s66                                      // 000000007454: BF0A4252
	s_cselect_b32 s20, s36, s60                                // 000000007458: 85143C24
	v_readlane_b32 s82, v3, 19                                 // 00000000745C: D2890052 00012703
	s_and_b32 s82, s82, 0xffffff                               // 000000007464: 8652FF52 00FFFFFF
	s_cmp_lt_u32 s82, s66                                      // 00000000746C: BF0A4252
	s_cselect_b32 s21, s36, s60                                // 000000007470: 85153C24
	s_mov_b64 exec, s[20:21]                                   // 000000007474: BEFE0114
	global_atomic_add_f32 v6, v149, s[8:9]                     // 000000007478: DD348000 00089506
	global_atomic_add_f32 v6, v153, s[8:9] offset:256          // 000000007480: DD348100 00089906
	s_mov_b64 exec, s[36:37]                                   // 000000007488: BEFE0124
	v_mov_b32_e32 v6, v62                                      // 00000000748C: 7E0C033E
	s_mov_b64 s[60:61], 0                                      // 000000007490: BEBC0180
	v_readlane_b32 s82, v3, 20                                 // 000000007494: D2890052 00012903
	s_and_b32 s82, s82, 0xffffff                               // 00000000749C: 8652FF52 00FFFFFF
	s_cmp_lt_u32 s82, s66                                      // 0000000074A4: BF0A4252
	s_cselect_b32 s20, s36, s60                                // 0000000074A8: 85143C24
	v_readlane_b32 s82, v3, 21                                 // 0000000074AC: D2890052 00012B03
	s_and_b32 s82, s82, 0xffffff                               // 0000000074B4: 8652FF52 00FFFFFF
	s_cmp_lt_u32 s82, s66                                      // 0000000074BC: BF0A4252
	s_cselect_b32 s21, s36, s60                                // 0000000074C0: 85153C24
	s_mov_b64 exec, s[20:21]                                   // 0000000074C4: BEFE0114
	global_atomic_add_f32 v6, v156, s[8:9]                     // 0000000074C8: DD348000 00089C06
	global_atomic_add_f32 v6, v160, s[8:9] offset:256          // 0000000074D0: DD348100 0008A006
	s_mov_b64 exec, s[36:37]                                   // 0000000074D8: BEFE0124
	v_mov_b32_e32 v6, v63                                      // 0000000074DC: 7E0C033F
	s_mov_b64 s[60:61], 0                                      // 0000000074E0: BEBC0180
	v_readlane_b32 s82, v3, 22                                 // 0000000074E4: D2890052 00012D03
	s_and_b32 s82, s82, 0xffffff                               // 0000000074EC: 8652FF52 00FFFFFF
	s_cmp_lt_u32 s82, s66                                      // 0000000074F4: BF0A4252
	s_cselect_b32 s20, s36, s60                                // 0000000074F8: 85143C24
	v_readlane_b32 s82, v3, 23                                 // 0000000074FC: D2890052 00012F03
	s_and_b32 s82, s82, 0xffffff                               // 000000007504: 8652FF52 00FFFFFF
	s_cmp_lt_u32 s82, s66                                      // 00000000750C: BF0A4252
	s_cselect_b32 s21, s36, s60                                // 000000007510: 85153C24
	s_mov_b64 exec, s[20:21]                                   // 000000007514: BEFE0114
	global_atomic_add_f32 v6, v157, s[8:9]                     // 000000007518: DD348000 00089D06
	global_atomic_add_f32 v6, v161, s[8:9] offset:256          // 000000007520: DD348100 0008A106
	s_mov_b64 exec, s[36:37]                                   // 000000007528: BEFE0124
	ds_write_b64 v20, v[118:119]                               // 00000000752C: D89A0000 00007614
	ds_write_b64 v20, v[122:123] offset:4352                   // 000000007534: D89A1100 00007A14
	ds_write_b64 v20, v[126:127] offset:8704                   // 00000000753C: D89A2200 00007E14
	ds_write_b64 v20, v[130:131] offset:13056                  // 000000007544: D89A3300 00008214
	ds_write_b64 v20, v[134:135] offset:17408                  // 00000000754C: D89A4400 00008614
	ds_write_b64 v20, v[138:139] offset:21760                  // 000000007554: D89A5500 00008A14
	ds_write_b64 v20, v[142:143] offset:2176                   // 00000000755C: D89A0880 00008E14
	ds_write_b64 v20, v[146:147] offset:6528                   // 000000007564: D89A1980 00009214
	ds_write_b64 v20, v[150:151] offset:10880                  // 00000000756C: D89A2A80 00009614
	ds_write_b64 v20, v[154:155] offset:15232                  // 000000007574: D89A3B80 00009A14
	ds_write_b64 v20, v[158:159] offset:19584                  // 00000000757C: D89A4C80 00009E14
	ds_write_b64 v20, v[162:163] offset:23936                  // 000000007584: D89A5D80 0000A214
	s_waitcnt lgkmcnt(0)                                       // 00000000758C: BF8CC07F
	s_barrier                                                  // 000000007590: BF8A0000
	ds_read_b32 v118, v21                                      // 000000007594: D86C0000 76000015
	ds_read_b32 v119, v21 offset:64                            // 00000000759C: D86C0040 77000015
	ds_read_b32 v122, v21 offset:2176                          // 0000000075A4: D86C0880 7A000015
	ds_read_b32 v123, v21 offset:2240                          // 0000000075AC: D86C08C0 7B000015
	ds_read_b32 v126, v21 offset:4352                          // 0000000075B4: D86C1100 7E000015
	ds_read_b32 v127, v21 offset:4416                          // 0000000075BC: D86C1140 7F000015
	ds_read_b32 v130, v21 offset:6528                          // 0000000075C4: D86C1980 82000015
	ds_read_b32 v131, v21 offset:6592                          // 0000000075CC: D86C19C0 83000015
	ds_read_b32 v134, v21 offset:8704                          // 0000000075D4: D86C2200 86000015
	ds_read_b32 v135, v21 offset:8768                          // 0000000075DC: D86C2240 87000015
	ds_read_b32 v138, v21 offset:10880                         // 0000000075E4: D86C2A80 8A000015
	ds_read_b32 v139, v21 offset:10944                         // 0000000075EC: D86C2AC0 8B000015
	ds_read_b32 v142, v21 offset:13056                         // 0000000075F4: D86C3300 8E000015
	ds_read_b32 v143, v21 offset:13120                         // 0000000075FC: D86C3340 8F000015
	ds_read_b32 v146, v21 offset:15232                         // 000000007604: D86C3B80 92000015
	ds_read_b32 v147, v21 offset:15296                         // 00000000760C: D86C3BC0 93000015
	ds_read_b32 v150, v21 offset:17408                         // 000000007614: D86C4400 96000015
	ds_read_b32 v151, v21 offset:17472                         // 00000000761C: D86C4440 97000015
	ds_read_b32 v154, v21 offset:19584                         // 000000007624: D86C4C80 9A000015
	ds_read_b32 v155, v21 offset:19648                         // 00000000762C: D86C4CC0 9B000015
	ds_read_b32 v158, v21 offset:21760                         // 000000007634: D86C5500 9E000015
	ds_read_b32 v159, v21 offset:21824                         // 00000000763C: D86C5540 9F000015
	ds_read_b32 v162, v21 offset:23936                         // 000000007644: D86C5D80 A2000015
	ds_read_b32 v163, v21 offset:24000                         // 00000000764C: D86C5DC0 A3000015
	s_waitcnt lgkmcnt(0)                                       // 000000007654: BF8CC07F
	v_mov_b32_e32 v7, 0                                        // 000000007658: 7E0E0280
	s_mov_b64 exec, s[36:37]                                   // 00000000765C: BEFE0124
	v_mov_b32_e32 v6, v52                                      // 000000007660: 7E0C0334
	s_mov_b64 s[60:61], 0                                      // 000000007664: BEBC0180
	v_readlane_b32 s82, v3, 0                                  // 000000007668: D2890052 00010103
	s_and_b32 s82, s82, 0xffffff                               // 000000007670: 8652FF52 00FFFFFF
	s_cmp_lt_u32 s82, s66                                      // 000000007678: BF0A4252
	s_cselect_b32 s20, s36, s60                                // 00000000767C: 85143C24
	v_readlane_b32 s82, v3, 1                                  // 000000007680: D2890052 00010303
	s_and_b32 s82, s82, 0xffffff                               // 000000007688: 8652FF52 00FFFFFF
	s_cmp_lt_u32 s82, s66                                      // 000000007690: BF0A4252
	s_cselect_b32 s21, s36, s60                                // 000000007694: 85153C24
	s_mov_b64 exec, s[20:21]                                   // 000000007698: BEFE0114
	global_atomic_add_f32 v6, v118, s[8:9] offset:8            // 00000000769C: DD348008 00087606
	global_atomic_add_f32 v6, v122, s[8:9] offset:264          // 0000000076A4: DD348108 00087A06
	s_mov_b64 exec, s[36:37]                                   // 0000000076AC: BEFE0124
	v_mov_b32_e32 v6, v53                                      // 0000000076B0: 7E0C0335
	s_mov_b64 s[60:61], 0                                      // 0000000076B4: BEBC0180
	v_readlane_b32 s82, v3, 2                                  // 0000000076B8: D2890052 00010503
	s_and_b32 s82, s82, 0xffffff                               // 0000000076C0: 8652FF52 00FFFFFF
	s_cmp_lt_u32 s82, s66                                      // 0000000076C8: BF0A4252
	s_cselect_b32 s20, s36, s60                                // 0000000076CC: 85143C24
	v_readlane_b32 s82, v3, 3                                  // 0000000076D0: D2890052 00010703
	s_and_b32 s82, s82, 0xffffff                               // 0000000076D8: 8652FF52 00FFFFFF
	s_cmp_lt_u32 s82, s66                                      // 0000000076E0: BF0A4252
	s_cselect_b32 s21, s36, s60                                // 0000000076E4: 85153C24
	s_mov_b64 exec, s[20:21]                                   // 0000000076E8: BEFE0114
	global_atomic_add_f32 v6, v119, s[8:9] offset:8            // 0000000076EC: DD348008 00087706
	global_atomic_add_f32 v6, v123, s[8:9] offset:264          // 0000000076F4: DD348108 00087B06
	s_mov_b64 exec, s[36:37]                                   // 0000000076FC: BEFE0124
	v_mov_b32_e32 v6, v54                                      // 000000007700: 7E0C0336
	s_mov_b64 s[60:61], 0                                      // 000000007704: BEBC0180
	v_readlane_b32 s82, v3, 4                                  // 000000007708: D2890052 00010903
	s_and_b32 s82, s82, 0xffffff                               // 000000007710: 8652FF52 00FFFFFF
	s_cmp_lt_u32 s82, s66                                      // 000000007718: BF0A4252
	s_cselect_b32 s20, s36, s60                                // 00000000771C: 85143C24
	v_readlane_b32 s82, v3, 5                                  // 000000007720: D2890052 00010B03
	s_and_b32 s82, s82, 0xffffff                               // 000000007728: 8652FF52 00FFFFFF
	s_cmp_lt_u32 s82, s66                                      // 000000007730: BF0A4252
	s_cselect_b32 s21, s36, s60                                // 000000007734: 85153C24
	s_mov_b64 exec, s[20:21]                                   // 000000007738: BEFE0114
	global_atomic_add_f32 v6, v126, s[8:9] offset:8            // 00000000773C: DD348008 00087E06
	global_atomic_add_f32 v6, v130, s[8:9] offset:264          // 000000007744: DD348108 00088206
	s_mov_b64 exec, s[36:37]                                   // 00000000774C: BEFE0124
	v_mov_b32_e32 v6, v55                                      // 000000007750: 7E0C0337
	s_mov_b64 s[60:61], 0                                      // 000000007754: BEBC0180
	v_readlane_b32 s82, v3, 6                                  // 000000007758: D2890052 00010D03
	s_and_b32 s82, s82, 0xffffff                               // 000000007760: 8652FF52 00FFFFFF
	s_cmp_lt_u32 s82, s66                                      // 000000007768: BF0A4252
	s_cselect_b32 s20, s36, s60                                // 00000000776C: 85143C24
	v_readlane_b32 s82, v3, 7                                  // 000000007770: D2890052 00010F03
	s_and_b32 s82, s82, 0xffffff                               // 000000007778: 8652FF52 00FFFFFF
	s_cmp_lt_u32 s82, s66                                      // 000000007780: BF0A4252
	s_cselect_b32 s21, s36, s60                                // 000000007784: 85153C24
	s_mov_b64 exec, s[20:21]                                   // 000000007788: BEFE0114
	global_atomic_add_f32 v6, v127, s[8:9] offset:8            // 00000000778C: DD348008 00087F06
	global_atomic_add_f32 v6, v131, s[8:9] offset:264          // 000000007794: DD348108 00088306
	s_mov_b64 exec, s[36:37]                                   // 00000000779C: BEFE0124
	v_mov_b32_e32 v6, v56                                      // 0000000077A0: 7E0C0338
	s_mov_b64 s[60:61], 0                                      // 0000000077A4: BEBC0180
	v_readlane_b32 s82, v3, 8                                  // 0000000077A8: D2890052 00011103
	s_and_b32 s82, s82, 0xffffff                               // 0000000077B0: 8652FF52 00FFFFFF
	s_cmp_lt_u32 s82, s66                                      // 0000000077B8: BF0A4252
	s_cselect_b32 s20, s36, s60                                // 0000000077BC: 85143C24
	v_readlane_b32 s82, v3, 9                                  // 0000000077C0: D2890052 00011303
	s_and_b32 s82, s82, 0xffffff                               // 0000000077C8: 8652FF52 00FFFFFF
	s_cmp_lt_u32 s82, s66                                      // 0000000077D0: BF0A4252
	s_cselect_b32 s21, s36, s60                                // 0000000077D4: 85153C24
	s_mov_b64 exec, s[20:21]                                   // 0000000077D8: BEFE0114
	global_atomic_add_f32 v6, v134, s[8:9] offset:8            // 0000000077DC: DD348008 00088606
	global_atomic_add_f32 v6, v138, s[8:9] offset:264          // 0000000077E4: DD348108 00088A06
	s_mov_b64 exec, s[36:37]                                   // 0000000077EC: BEFE0124
	v_mov_b32_e32 v6, v57                                      // 0000000077F0: 7E0C0339
	s_mov_b64 s[60:61], 0                                      // 0000000077F4: BEBC0180
	v_readlane_b32 s82, v3, 10                                 // 0000000077F8: D2890052 00011503
	s_and_b32 s82, s82, 0xffffff                               // 000000007800: 8652FF52 00FFFFFF
	s_cmp_lt_u32 s82, s66                                      // 000000007808: BF0A4252
	s_cselect_b32 s20, s36, s60                                // 00000000780C: 85143C24
	v_readlane_b32 s82, v3, 11                                 // 000000007810: D2890052 00011703
	s_and_b32 s82, s82, 0xffffff                               // 000000007818: 8652FF52 00FFFFFF
	s_cmp_lt_u32 s82, s66                                      // 000000007820: BF0A4252
	s_cselect_b32 s21, s36, s60                                // 000000007824: 85153C24
	s_mov_b64 exec, s[20:21]                                   // 000000007828: BEFE0114
	global_atomic_add_f32 v6, v135, s[8:9] offset:8            // 00000000782C: DD348008 00088706
	global_atomic_add_f32 v6, v139, s[8:9] offset:264          // 000000007834: DD348108 00088B06
	s_mov_b64 exec, s[36:37]                                   // 00000000783C: BEFE0124
	v_mov_b32_e32 v6, v58                                      // 000000007840: 7E0C033A
	s_mov_b64 s[60:61], 0                                      // 000000007844: BEBC0180
	v_readlane_b32 s82, v3, 12                                 // 000000007848: D2890052 00011903
	s_and_b32 s82, s82, 0xffffff                               // 000000007850: 8652FF52 00FFFFFF
	s_cmp_lt_u32 s82, s66                                      // 000000007858: BF0A4252
	s_cselect_b32 s20, s36, s60                                // 00000000785C: 85143C24
	v_readlane_b32 s82, v3, 13                                 // 000000007860: D2890052 00011B03
	s_and_b32 s82, s82, 0xffffff                               // 000000007868: 8652FF52 00FFFFFF
	s_cmp_lt_u32 s82, s66                                      // 000000007870: BF0A4252
	s_cselect_b32 s21, s36, s60                                // 000000007874: 85153C24
	s_mov_b64 exec, s[20:21]                                   // 000000007878: BEFE0114
	global_atomic_add_f32 v6, v142, s[8:9] offset:8            // 00000000787C: DD348008 00088E06
	global_atomic_add_f32 v6, v146, s[8:9] offset:264          // 000000007884: DD348108 00089206
	s_mov_b64 exec, s[36:37]                                   // 00000000788C: BEFE0124
	v_mov_b32_e32 v6, v59                                      // 000000007890: 7E0C033B
	s_mov_b64 s[60:61], 0                                      // 000000007894: BEBC0180
	v_readlane_b32 s82, v3, 14                                 // 000000007898: D2890052 00011D03
	s_and_b32 s82, s82, 0xffffff                               // 0000000078A0: 8652FF52 00FFFFFF
	s_cmp_lt_u32 s82, s66                                      // 0000000078A8: BF0A4252
	s_cselect_b32 s20, s36, s60                                // 0000000078AC: 85143C24
	v_readlane_b32 s82, v3, 15                                 // 0000000078B0: D2890052 00011F03
	s_and_b32 s82, s82, 0xffffff                               // 0000000078B8: 8652FF52 00FFFFFF
	s_cmp_lt_u32 s82, s66                                      // 0000000078C0: BF0A4252
	s_cselect_b32 s21, s36, s60                                // 0000000078C4: 85153C24
	s_mov_b64 exec, s[20:21]                                   // 0000000078C8: BEFE0114
	global_atomic_add_f32 v6, v143, s[8:9] offset:8            // 0000000078CC: DD348008 00088F06
	global_atomic_add_f32 v6, v147, s[8:9] offset:264          // 0000000078D4: DD348108 00089306
	s_mov_b64 exec, s[36:37]                                   // 0000000078DC: BEFE0124
	v_mov_b32_e32 v6, v60                                      // 0000000078E0: 7E0C033C
	s_mov_b64 s[60:61], 0                                      // 0000000078E4: BEBC0180
	v_readlane_b32 s82, v3, 16                                 // 0000000078E8: D2890052 00012103
	s_and_b32 s82, s82, 0xffffff                               // 0000000078F0: 8652FF52 00FFFFFF
	s_cmp_lt_u32 s82, s66                                      // 0000000078F8: BF0A4252
	s_cselect_b32 s20, s36, s60                                // 0000000078FC: 85143C24
	v_readlane_b32 s82, v3, 17                                 // 000000007900: D2890052 00012303
	s_and_b32 s82, s82, 0xffffff                               // 000000007908: 8652FF52 00FFFFFF
	s_cmp_lt_u32 s82, s66                                      // 000000007910: BF0A4252
	s_cselect_b32 s21, s36, s60                                // 000000007914: 85153C24
	s_mov_b64 exec, s[20:21]                                   // 000000007918: BEFE0114
	global_atomic_add_f32 v6, v150, s[8:9] offset:8            // 00000000791C: DD348008 00089606
	global_atomic_add_f32 v6, v154, s[8:9] offset:264          // 000000007924: DD348108 00089A06
	s_mov_b64 exec, s[36:37]                                   // 00000000792C: BEFE0124
	v_mov_b32_e32 v6, v61                                      // 000000007930: 7E0C033D
	s_mov_b64 s[60:61], 0                                      // 000000007934: BEBC0180
	v_readlane_b32 s82, v3, 18                                 // 000000007938: D2890052 00012503
	s_and_b32 s82, s82, 0xffffff                               // 000000007940: 8652FF52 00FFFFFF
	s_cmp_lt_u32 s82, s66                                      // 000000007948: BF0A4252
	s_cselect_b32 s20, s36, s60                                // 00000000794C: 85143C24
	v_readlane_b32 s82, v3, 19                                 // 000000007950: D2890052 00012703
	s_and_b32 s82, s82, 0xffffff                               // 000000007958: 8652FF52 00FFFFFF
	s_cmp_lt_u32 s82, s66                                      // 000000007960: BF0A4252
	s_cselect_b32 s21, s36, s60                                // 000000007964: 85153C24
	s_mov_b64 exec, s[20:21]                                   // 000000007968: BEFE0114
	global_atomic_add_f32 v6, v151, s[8:9] offset:8            // 00000000796C: DD348008 00089706
	global_atomic_add_f32 v6, v155, s[8:9] offset:264          // 000000007974: DD348108 00089B06
	s_mov_b64 exec, s[36:37]                                   // 00000000797C: BEFE0124
	v_mov_b32_e32 v6, v62                                      // 000000007980: 7E0C033E
	s_mov_b64 s[60:61], 0                                      // 000000007984: BEBC0180
	v_readlane_b32 s82, v3, 20                                 // 000000007988: D2890052 00012903
	s_and_b32 s82, s82, 0xffffff                               // 000000007990: 8652FF52 00FFFFFF
	s_cmp_lt_u32 s82, s66                                      // 000000007998: BF0A4252
	s_cselect_b32 s20, s36, s60                                // 00000000799C: 85143C24
	v_readlane_b32 s82, v3, 21                                 // 0000000079A0: D2890052 00012B03
	s_and_b32 s82, s82, 0xffffff                               // 0000000079A8: 8652FF52 00FFFFFF
	s_cmp_lt_u32 s82, s66                                      // 0000000079B0: BF0A4252
	s_cselect_b32 s21, s36, s60                                // 0000000079B4: 85153C24
	s_mov_b64 exec, s[20:21]                                   // 0000000079B8: BEFE0114
	global_atomic_add_f32 v6, v158, s[8:9] offset:8            // 0000000079BC: DD348008 00089E06
	global_atomic_add_f32 v6, v162, s[8:9] offset:264          // 0000000079C4: DD348108 0008A206
	s_mov_b64 exec, s[36:37]                                   // 0000000079CC: BEFE0124
	v_mov_b32_e32 v6, v63                                      // 0000000079D0: 7E0C033F
	s_mov_b64 s[60:61], 0                                      // 0000000079D4: BEBC0180
	v_readlane_b32 s82, v3, 22                                 // 0000000079D8: D2890052 00012D03
	s_and_b32 s82, s82, 0xffffff                               // 0000000079E0: 8652FF52 00FFFFFF
	s_cmp_lt_u32 s82, s66                                      // 0000000079E8: BF0A4252
	s_cselect_b32 s20, s36, s60                                // 0000000079EC: 85143C24
	v_readlane_b32 s82, v3, 23                                 // 0000000079F0: D2890052 00012F03
	s_and_b32 s82, s82, 0xffffff                               // 0000000079F8: 8652FF52 00FFFFFF
	s_cmp_lt_u32 s82, s66                                      // 000000007A00: BF0A4252
	s_cselect_b32 s21, s36, s60                                // 000000007A04: 85153C24
	s_mov_b64 exec, s[20:21]                                   // 000000007A08: BEFE0114
	global_atomic_add_f32 v6, v159, s[8:9] offset:8            // 000000007A0C: DD348008 00089F06
	global_atomic_add_f32 v6, v163, s[8:9] offset:264          // 000000007A14: DD348108 0008A306
	s_mov_b64 exec, s[36:37]                                   // 000000007A1C: BEFE0124
	s_branch label_251E                                        // 000000007A20: BF821112

0000000000007a24 <label_140C>:
	s_waitcnt vmcnt(2) lgkmcnt(0)                              // 000000007A24: BF8C0072
	s_barrier                                                  // 000000007A28: BF8A0000
	v_mfma_i32_16x16x32_i8 v[68:71], a[96:97], a[0:1], v[68:71]// 000000007A2C: D3D70044 1D120160
	buffer_load_dwordx4 a[112:115], v64, s[84:87], 0 offen     // 000000007A34: E05C1000 80957040
	v_mfma_i32_16x16x32_i8 v[68:71], a[98:99], a[2:3], v[68:71]// 000000007A3C: D3D70044 1D120562
	v_mfma_i32_16x16x32_i8 v[68:71], a[100:101], a[4:5], v[68:71]// 000000007A44: D3D70044 1D120964
	v_mfma_i32_16x16x32_i8 v[68:71], a[102:103], a[6:7], v[68:71]// 000000007A4C: D3D70044 1D120D66
	v_mfma_i32_16x16x32_i8 v[72:75], a[96:97], a[8:9], v[72:75]// 000000007A54: D3D70048 1D221160
	buffer_load_dwordx4 a[116:119], v64, s[84:87], 0 offen offset:1024// 000000007A5C: E05C1400 80957440
	v_mfma_i32_16x16x32_i8 v[72:75], a[98:99], a[10:11], v[72:75]// 000000007A64: D3D70048 1D221562
	v_mfma_i32_16x16x32_i8 v[72:75], a[100:101], a[12:13], v[72:75]// 000000007A6C: D3D70048 1D221964
	v_mfma_i32_16x16x32_i8 v[72:75], a[102:103], a[14:15], v[72:75]// 000000007A74: D3D70048 1D221D66
	v_mfma_i32_16x16x32_i8 v[76:79], a[96:97], a[16:17], v[76:79]// 000000007A7C: D3D7004C 1D322160
	buffer_load_dwordx4 a[120:123], v65, s[84:87], 0 offen     // 000000007A84: E05C1000 80957841
	v_mfma_i32_16x16x32_i8 v[76:79], a[98:99], a[18:19], v[76:79]// 000000007A8C: D3D7004C 1D322562
	v_mfma_i32_16x16x32_i8 v[76:79], a[100:101], a[20:21], v[76:79]// 000000007A94: D3D7004C 1D322964
	v_mfma_i32_16x16x32_i8 v[76:79], a[102:103], a[22:23], v[76:79]// 000000007A9C: D3D7004C 1D322D66
	v_mfma_i32_16x16x32_i8 v[80:83], a[96:97], a[24:25], v[80:83]// 000000007AA4: D3D70050 1D423160
	buffer_load_dwordx4 a[124:127], v65, s[84:87], 0 offen offset:1024// 000000007AAC: E05C1400 80957C41
	buffer_load_dword v52, s[20:23], 0 offen lds               // 000000007AB4: E0511000 80050034
	s_add_u32 m0, 0x100, s48                                   // 000000007ABC: 807C30FF 00000100
	v_mfma_i32_16x16x32_i8 v[80:83], a[98:99], a[26:27], v[80:83]// 000000007AC4: D3D70050 1D423562
	v_mfma_i32_16x16x32_i8 v[80:83], a[100:101], a[28:29], v[80:83]// 000000007ACC: D3D70050 1D423964
	buffer_load_dword v53, s[20:23], 0 offen lds               // 000000007AD4: E0511000 80050035
	s_add_u32 m0, 0x200, s48                                   // 000000007ADC: 807C30FF 00000200
	v_mfma_i32_16x16x32_i8 v[80:83], a[102:103], a[30:31], v[80:83]// 000000007AE4: D3D70050 1D423D66
	v_mfma_i32_16x16x32_i8 v[84:87], a[96:97], a[32:33], v[84:87]// 000000007AEC: D3D70054 1D524160
	buffer_load_dword v54, s[20:23], 0 offen lds               // 000000007AF4: E0511000 80050036
	s_add_u32 m0, 0x300, s48                                   // 000000007AFC: 807C30FF 00000300
	v_mfma_i32_16x16x32_i8 v[84:87], a[98:99], a[34:35], v[84:87]// 000000007B04: D3D70054 1D524562
	v_mfma_i32_16x16x32_i8 v[84:87], a[100:101], a[36:37], v[84:87]// 000000007B0C: D3D70054 1D524964
	buffer_load_dword v55, s[20:23], 0 offen lds               // 000000007B14: E0511000 80050037
	s_add_u32 m0, 0x400, s48                                   // 000000007B1C: 807C30FF 00000400
	v_mfma_i32_16x16x32_i8 v[84:87], a[102:103], a[38:39], v[84:87]// 000000007B24: D3D70054 1D524D66
	v_mfma_i32_16x16x32_i8 v[88:91], a[96:97], a[40:41], v[88:91]// 000000007B2C: D3D70058 1D625160
	buffer_load_dword v56, s[20:23], 0 offen lds               // 000000007B34: E0511000 80050038
	s_add_u32 m0, 0x500, s48                                   // 000000007B3C: 807C30FF 00000500
	v_mfma_i32_16x16x32_i8 v[88:91], a[98:99], a[42:43], v[88:91]// 000000007B44: D3D70058 1D625562
	v_mfma_i32_16x16x32_i8 v[88:91], a[100:101], a[44:45], v[88:91]// 000000007B4C: D3D70058 1D625964
	buffer_load_dword v57, s[20:23], 0 offen lds               // 000000007B54: E0511000 80050039
	s_add_u32 m0, 0x600, s48                                   // 000000007B5C: 807C30FF 00000600
	v_mfma_i32_16x16x32_i8 v[88:91], a[102:103], a[46:47], v[88:91]// 000000007B64: D3D70058 1D625D66
	s_waitcnt vmcnt(10)                                        // 000000007B6C: BF8C0F7A
	v_mfma_i32_16x16x32_i8 v[92:95], a[104:105], a[0:1], v[92:95]// 000000007B70: D3D7005C 1D720168
	buffer_load_dword v58, s[20:23], 0 offen lds               // 000000007B78: E0511000 8005003A
	s_add_u32 m0, 0x700, s48                                   // 000000007B80: 807C30FF 00000700
	v_mfma_i32_16x16x32_i8 v[92:95], a[106:107], a[2:3], v[92:95]// 000000007B88: D3D7005C 1D72056A
	v_mfma_i32_16x16x32_i8 v[92:95], a[108:109], a[4:5], v[92:95]// 000000007B90: D3D7005C 1D72096C
	buffer_load_dword v59, s[20:23], 0 offen lds               // 000000007B98: E0511000 8005003B
	s_add_u32 m0, 0x800, s48                                   // 000000007BA0: 807C30FF 00000800
	v_mfma_i32_16x16x32_i8 v[92:95], a[110:111], a[6:7], v[92:95]// 000000007BA8: D3D7005C 1D720D6E
	v_mfma_i32_16x16x32_i8 v[96:99], a[104:105], a[8:9], v[96:99]// 000000007BB0: D3D70060 1D821168
	buffer_load_dword v60, s[20:23], 0 offen lds               // 000000007BB8: E0511000 8005003C
	s_add_u32 m0, 0x900, s48                                   // 000000007BC0: 807C30FF 00000900
	v_mfma_i32_16x16x32_i8 v[96:99], a[106:107], a[10:11], v[96:99]// 000000007BC8: D3D70060 1D82156A
	v_mfma_i32_16x16x32_i8 v[96:99], a[108:109], a[12:13], v[96:99]// 000000007BD0: D3D70060 1D82196C
	buffer_load_dword v61, s[20:23], 0 offen lds               // 000000007BD8: E0511000 8005003D
	s_add_u32 m0, 0xa00, s48                                   // 000000007BE0: 807C30FF 00000A00
	v_mfma_i32_16x16x32_i8 v[96:99], a[110:111], a[14:15], v[96:99]// 000000007BE8: D3D70060 1D821D6E
	v_mfma_i32_16x16x32_i8 v[100:103], a[104:105], a[16:17], v[100:103]// 000000007BF0: D3D70064 1D922168
	buffer_load_dword v62, s[20:23], 0 offen lds               // 000000007BF8: E0511000 8005003E
	s_add_u32 m0, 0xb00, s48                                   // 000000007C00: 807C30FF 00000B00
	v_mfma_i32_16x16x32_i8 v[100:103], a[106:107], a[18:19], v[100:103]// 000000007C08: D3D70064 1D92256A
	v_mfma_i32_16x16x32_i8 v[100:103], a[108:109], a[20:21], v[100:103]// 000000007C10: D3D70064 1D92296C
	buffer_load_dword v63, s[20:23], 0 offen lds               // 000000007C18: E0511000 8005003F
	s_add_u32 m0, 0, s49                                       // 000000007C20: 807C3180
	v_mfma_i32_16x16x32_i8 v[100:103], a[110:111], a[22:23], v[100:103]// 000000007C24: D3D70064 1D922D6E
	v_mfma_i32_16x16x32_i8 v[104:107], a[104:105], a[24:25], v[104:107]// 000000007C2C: D3D70068 1DA23168
	v_mfma_i32_16x16x32_i8 v[104:107], a[106:107], a[26:27], v[104:107]// 000000007C34: D3D70068 1DA2356A
	v_mfma_i32_16x16x32_i8 v[104:107], a[108:109], a[28:29], v[104:107]// 000000007C3C: D3D70068 1DA2396C
	v_mfma_i32_16x16x32_i8 v[104:107], a[110:111], a[30:31], v[104:107]// 000000007C44: D3D70068 1DA23D6E
	v_mfma_i32_16x16x32_i8 v[108:111], a[104:105], a[32:33], v[108:111]// 000000007C4C: D3D7006C 1DB24168
	v_mfma_i32_16x16x32_i8 v[108:111], a[106:107], a[34:35], v[108:111]// 000000007C54: D3D7006C 1DB2456A
	v_mfma_i32_16x16x32_i8 v[108:111], a[108:109], a[36:37], v[108:111]// 000000007C5C: D3D7006C 1DB2496C
	v_mfma_i32_16x16x32_i8 v[108:111], a[110:111], a[38:39], v[108:111]// 000000007C64: D3D7006C 1DB24D6E
	v_mfma_i32_16x16x32_i8 v[112:115], a[104:105], a[40:41], v[112:115]// 000000007C6C: D3D70070 1DC25168
	v_mfma_i32_16x16x32_i8 v[112:115], a[106:107], a[42:43], v[112:115]// 000000007C74: D3D70070 1DC2556A
	s_add_u32 s60, 0x80, s80                                   // 000000007C7C: 803C50FF 00000080
	s_cmp_lt_u32 s60, s81                                      // 000000007C84: BF0A513C
	s_cselect_b32 s83, s83, 0                                  // 000000007C88: 85538053
	v_mfma_i32_16x16x32_i8 v[112:115], a[108:109], a[44:45], v[112:115]// 000000007C8C: D3D70070 1DC2596C
	v_mfma_i32_16x16x32_i8 v[112:115], a[110:111], a[46:47], v[112:115]// 000000007C94: D3D70070 1DC25D6E
	s_waitcnt vmcnt(12)                                        // 000000007C9C: BF8C0F7C
	v_mfma_i32_16x16x32_i8 v[116:119], a[112:113], a[0:1], v[116:119]// 000000007CA0: D3D70074 1DD20170
	buffer_load_dwordx4 a[96:99], v64, s[24:27], 0 offen       // 000000007CA8: E05C1000 80866040
	v_mfma_i32_16x16x32_i8 v[116:119], a[114:115], a[2:3], v[116:119]// 000000007CB0: D3D70074 1DD20572
	v_mfma_i32_16x16x32_i8 v[116:119], a[116:117], a[4:5], v[116:119]// 000000007CB8: D3D70074 1DD20974
	ds_read_b128 a[48:51], v2 offset:12416                     // 000000007CC0: DBFE3080 30000002
	ds_read_b128 a[52:55], v2 offset:12480                     // 000000007CC8: DBFE30C0 34000002
	v_mfma_i32_16x16x32_i8 v[116:119], a[118:119], a[6:7], v[116:119]// 000000007CD0: D3D70074 1DD20D76
	v_mfma_i32_16x16x32_i8 v[140:143], a[120:121], a[0:1], v[140:143]// 000000007CD8: D3D7008C 1E320178
	buffer_load_dwordx4 a[100:103], v64, s[24:27], 0 offen offset:1024// 000000007CE0: E05C1400 80866440
	v_mfma_i32_16x16x32_i8 v[140:143], a[122:123], a[2:3], v[140:143]// 000000007CE8: D3D7008C 1E32057A
	v_mfma_i32_16x16x32_i8 v[140:143], a[124:125], a[4:5], v[140:143]// 000000007CF0: D3D7008C 1E32097C
	ds_read_b128 a[56:59], v2 offset:12928                     // 000000007CF8: DBFE3280 38000002
	ds_read_b128 a[60:63], v2 offset:12992                     // 000000007D00: DBFE32C0 3C000002
	v_mfma_i32_16x16x32_i8 v[140:143], a[126:127], a[6:7], v[140:143]// 000000007D08: D3D7008C 1E320D7E
	v_mfma_i32_16x16x32_i8 v[120:123], a[112:113], a[8:9], v[120:123]// 000000007D10: D3D70078 1DE21170
	buffer_load_dwordx4 a[104:107], v65, s[24:27], 0 offen     // 000000007D18: E05C1000 80866841
	v_mfma_i32_16x16x32_i8 v[120:123], a[114:115], a[10:11], v[120:123]// 000000007D20: D3D70078 1DE21572
	v_mfma_i32_16x16x32_i8 v[120:123], a[116:117], a[12:13], v[120:123]// 000000007D28: D3D70078 1DE21974
	ds_read_b128 a[64:67], v2 offset:13440                     // 000000007D30: DBFE3480 40000002
	ds_read_b128 a[68:71], v2 offset:13504                     // 000000007D38: DBFE34C0 44000002
	v_mfma_i32_16x16x32_i8 v[120:123], a[118:119], a[14:15], v[120:123]// 000000007D40: D3D70078 1DE21D76
	v_mfma_i32_16x16x32_i8 v[144:147], a[120:121], a[8:9], v[144:147]// 000000007D48: D3D70090 1E421178
	buffer_load_dwordx4 a[108:111], v65, s[24:27], 0 offen offset:1024// 000000007D50: E05C1400 80866C41
	v_mfma_i32_16x16x32_i8 v[144:147], a[122:123], a[10:11], v[144:147]// 000000007D58: D3D70090 1E42157A
	v_mfma_i32_16x16x32_i8 v[144:147], a[124:125], a[12:13], v[144:147]// 000000007D60: D3D70090 1E42197C
	ds_read_b128 a[72:75], v2 offset:13952                     // 000000007D68: DBFE3680 48000002
	ds_read_b128 a[76:79], v2 offset:14016                     // 000000007D70: DBFE36C0 4C000002
	v_mfma_i32_16x16x32_i8 v[144:147], a[126:127], a[14:15], v[144:147]// 000000007D78: D3D70090 1E421D7E
	v_mfma_i32_16x16x32_i8 v[124:127], a[112:113], a[16:17], v[124:127]// 000000007D80: D3D7007C 1DF22170
	v_mfma_i32_16x16x32_i8 v[124:127], a[114:115], a[18:19], v[124:127]// 000000007D88: D3D7007C 1DF22572
	v_mfma_i32_16x16x32_i8 v[124:127], a[116:117], a[20:21], v[124:127]// 000000007D90: D3D7007C 1DF22974
	ds_read_b128 a[80:83], v2 offset:14464                     // 000000007D98: DBFE3880 50000002
	ds_read_b128 a[84:87], v2 offset:14528                     // 000000007DA0: DBFE38C0 54000002
	v_mfma_i32_16x16x32_i8 v[124:127], a[118:119], a[22:23], v[124:127]// 000000007DA8: D3D7007C 1DF22D76
	v_mfma_i32_16x16x32_i8 v[148:151], a[120:121], a[16:17], v[148:151]// 000000007DB0: D3D70094 1E522178
	v_mfma_i32_16x16x32_i8 v[148:151], a[122:123], a[18:19], v[148:151]// 000000007DB8: D3D70094 1E52257A
	v_mfma_i32_16x16x32_i8 v[148:151], a[124:125], a[20:21], v[148:151]// 000000007DC0: D3D70094 1E52297C
	ds_read_b128 a[88:91], v2 offset:14976                     // 000000007DC8: DBFE3A80 58000002
	ds_read_b128 a[92:95], v2 offset:15040                     // 000000007DD0: DBFE3AC0 5C000002
	v_mfma_i32_16x16x32_i8 v[148:151], a[126:127], a[22:23], v[148:151]// 000000007DD8: D3D70094 1E522D7E
	v_mfma_i32_16x16x32_i8 v[128:131], a[112:113], a[24:25], v[128:131]// 000000007DE0: D3D70080 1E023170
	v_mfma_i32_16x16x32_i8 v[128:131], a[114:115], a[26:27], v[128:131]// 000000007DE8: D3D70080 1E023572
	v_mfma_i32_16x16x32_i8 v[128:131], a[116:117], a[28:29], v[128:131]// 000000007DF0: D3D70080 1E023974
	v_mfma_i32_16x16x32_i8 v[128:131], a[118:119], a[30:31], v[128:131]// 000000007DF8: D3D70080 1E023D76
	v_mfma_i32_16x16x32_i8 v[152:155], a[120:121], a[24:25], v[152:155]// 000000007E00: D3D70098 1E623178
	v_mfma_i32_16x16x32_i8 v[152:155], a[122:123], a[26:27], v[152:155]// 000000007E08: D3D70098 1E62357A
	v_mfma_i32_16x16x32_i8 v[152:155], a[124:125], a[28:29], v[152:155]// 000000007E10: D3D70098 1E62397C
	v_mfma_i32_16x16x32_i8 v[152:155], a[126:127], a[30:31], v[152:155]// 000000007E18: D3D70098 1E623D7E
	v_mfma_i32_16x16x32_i8 v[132:135], a[112:113], a[32:33], v[132:135]// 000000007E20: D3D70084 1E124170
	v_mfma_i32_16x16x32_i8 v[132:135], a[114:115], a[34:35], v[132:135]// 000000007E28: D3D70084 1E124572
	v_mfma_i32_16x16x32_i8 v[132:135], a[116:117], a[36:37], v[132:135]// 000000007E30: D3D70084 1E124974
	v_mfma_i32_16x16x32_i8 v[132:135], a[118:119], a[38:39], v[132:135]// 000000007E38: D3D70084 1E124D76
	v_mfma_i32_16x16x32_i8 v[156:159], a[120:121], a[32:33], v[156:159]// 000000007E40: D3D7009C 1E724178
	v_mfma_i32_16x16x32_i8 v[156:159], a[122:123], a[34:35], v[156:159]// 000000007E48: D3D7009C 1E72457A
	v_mfma_i32_16x16x32_i8 v[156:159], a[124:125], a[36:37], v[156:159]// 000000007E50: D3D7009C 1E72497C
	v_mfma_i32_16x16x32_i8 v[156:159], a[126:127], a[38:39], v[156:159]// 000000007E58: D3D7009C 1E724D7E
	v_mfma_i32_16x16x32_i8 v[136:139], a[112:113], a[40:41], v[136:139]// 000000007E60: D3D70088 1E225170
	v_mfma_i32_16x16x32_i8 v[136:139], a[114:115], a[42:43], v[136:139]// 000000007E68: D3D70088 1E225572
	v_mfma_i32_16x16x32_i8 v[136:139], a[116:117], a[44:45], v[136:139]// 000000007E70: D3D70088 1E225974
	s_add_u32 s60, 0x180, s80                                  // 000000007E78: 803C50FF 00000180
	s_cmp_lt_u32 s60, s81                                      // 000000007E80: BF0A513C
	s_cselect_b32 s57, s57, 0                                  // 000000007E84: 85398039
	v_mfma_i32_16x16x32_i8 v[136:139], a[118:119], a[46:47], v[136:139]// 000000007E88: D3D70088 1E225D76
	s_add_u32 s60, 0x100, s80                                  // 000000007E90: 803C50FF 00000100
	s_cmp_lt_u32 s60, s81                                      // 000000007E98: BF0A513C
	s_cselect_b32 s58, s58, 0                                  // 000000007E9C: 853A803A
	v_mfma_i32_16x16x32_i8 v[160:163], a[120:121], a[40:41], v[160:163]// 000000007EA0: D3D700A0 1E825178
	s_add_u32 s24, s58, s24                                    // 000000007EA8: 8018183A
	s_addc_u32 s25, 0, s25                                     // 000000007EAC: 82191980
	v_mfma_i32_16x16x32_i8 v[160:163], a[122:123], a[42:43], v[160:163]// 000000007EB0: D3D700A0 1E82557A
	s_add_u32 s20, s57, s20                                    // 000000007EB8: 80141439
	s_addc_u32 s21, 0, s21                                     // 000000007EBC: 82151580
	v_mfma_i32_16x16x32_i8 v[160:163], a[124:125], a[44:45], v[160:163]// 000000007EC0: D3D700A0 1E82597C
	s_add_u32 s84, s83, s84                                    // 000000007EC8: 80545453
	s_addc_u32 s85, 0, s85                                     // 000000007ECC: 82555580
	v_mfma_i32_16x16x32_i8 v[160:163], a[126:127], a[46:47], v[160:163]// 000000007ED0: D3D700A0 1E825D7E
	s_addk_i32 s80, 0x80                                       // 000000007ED8: B7500080
	s_cmp_lt_i32 s80, s81                                      // 000000007EDC: BF045150
	s_cbranch_scc0 label_166D                                  // 000000007EE0: BF840131
	s_waitcnt vmcnt(2) lgkmcnt(0)                              // 000000007EE4: BF8C0072
	s_barrier                                                  // 000000007EE8: BF8A0000
	v_mfma_i32_16x16x32_i8 v[68:71], a[96:97], a[48:49], v[68:71]// 000000007EEC: D3D70044 1D126160
	buffer_load_dwordx4 a[112:115], v64, s[84:87], 0 offen     // 000000007EF4: E05C1000 80957040
	v_mfma_i32_16x16x32_i8 v[68:71], a[98:99], a[50:51], v[68:71]// 000000007EFC: D3D70044 1D126562
	v_mfma_i32_16x16x32_i8 v[68:71], a[100:101], a[52:53], v[68:71]// 000000007F04: D3D70044 1D126964
	v_mfma_i32_16x16x32_i8 v[68:71], a[102:103], a[54:55], v[68:71]// 000000007F0C: D3D70044 1D126D66
	v_mfma_i32_16x16x32_i8 v[72:75], a[96:97], a[56:57], v[72:75]// 000000007F14: D3D70048 1D227160
	buffer_load_dwordx4 a[116:119], v64, s[84:87], 0 offen offset:1024// 000000007F1C: E05C1400 80957440
	v_mfma_i32_16x16x32_i8 v[72:75], a[98:99], a[58:59], v[72:75]// 000000007F24: D3D70048 1D227562
	v_mfma_i32_16x16x32_i8 v[72:75], a[100:101], a[60:61], v[72:75]// 000000007F2C: D3D70048 1D227964
	v_mfma_i32_16x16x32_i8 v[72:75], a[102:103], a[62:63], v[72:75]// 000000007F34: D3D70048 1D227D66
	v_mfma_i32_16x16x32_i8 v[76:79], a[96:97], a[64:65], v[76:79]// 000000007F3C: D3D7004C 1D328160
	buffer_load_dwordx4 a[120:123], v65, s[84:87], 0 offen     // 000000007F44: E05C1000 80957841
	v_mfma_i32_16x16x32_i8 v[76:79], a[98:99], a[66:67], v[76:79]// 000000007F4C: D3D7004C 1D328562
	v_mfma_i32_16x16x32_i8 v[76:79], a[100:101], a[68:69], v[76:79]// 000000007F54: D3D7004C 1D328964
	v_mfma_i32_16x16x32_i8 v[76:79], a[102:103], a[70:71], v[76:79]// 000000007F5C: D3D7004C 1D328D66
	v_mfma_i32_16x16x32_i8 v[80:83], a[96:97], a[72:73], v[80:83]// 000000007F64: D3D70050 1D429160
	buffer_load_dwordx4 a[124:127], v65, s[84:87], 0 offen offset:1024// 000000007F6C: E05C1400 80957C41
	buffer_load_dword v52, s[20:23], 0 offen lds               // 000000007F74: E0511000 80050034
	s_add_u32 m0, 0x100, s49                                   // 000000007F7C: 807C31FF 00000100
	v_mfma_i32_16x16x32_i8 v[80:83], a[98:99], a[74:75], v[80:83]// 000000007F84: D3D70050 1D429562
	v_mfma_i32_16x16x32_i8 v[80:83], a[100:101], a[76:77], v[80:83]// 000000007F8C: D3D70050 1D429964
	buffer_load_dword v53, s[20:23], 0 offen lds               // 000000007F94: E0511000 80050035
	s_add_u32 m0, 0x200, s49                                   // 000000007F9C: 807C31FF 00000200
	v_mfma_i32_16x16x32_i8 v[80:83], a[102:103], a[78:79], v[80:83]// 000000007FA4: D3D70050 1D429D66
	v_mfma_i32_16x16x32_i8 v[84:87], a[96:97], a[80:81], v[84:87]// 000000007FAC: D3D70054 1D52A160
	buffer_load_dword v54, s[20:23], 0 offen lds               // 000000007FB4: E0511000 80050036
	s_add_u32 m0, 0x300, s49                                   // 000000007FBC: 807C31FF 00000300
	v_mfma_i32_16x16x32_i8 v[84:87], a[98:99], a[82:83], v[84:87]// 000000007FC4: D3D70054 1D52A562
	v_mfma_i32_16x16x32_i8 v[84:87], a[100:101], a[84:85], v[84:87]// 000000007FCC: D3D70054 1D52A964
	buffer_load_dword v55, s[20:23], 0 offen lds               // 000000007FD4: E0511000 80050037
	s_add_u32 m0, 0x400, s49                                   // 000000007FDC: 807C31FF 00000400
	v_mfma_i32_16x16x32_i8 v[84:87], a[102:103], a[86:87], v[84:87]// 000000007FE4: D3D70054 1D52AD66
	v_mfma_i32_16x16x32_i8 v[88:91], a[96:97], a[88:89], v[88:91]// 000000007FEC: D3D70058 1D62B160
	buffer_load_dword v56, s[20:23], 0 offen lds               // 000000007FF4: E0511000 80050038
	s_add_u32 m0, 0x500, s49                                   // 000000007FFC: 807C31FF 00000500
	v_mfma_i32_16x16x32_i8 v[88:91], a[98:99], a[90:91], v[88:91]// 000000008004: D3D70058 1D62B562
	v_mfma_i32_16x16x32_i8 v[88:91], a[100:101], a[92:93], v[88:91]// 00000000800C: D3D70058 1D62B964
	buffer_load_dword v57, s[20:23], 0 offen lds               // 000000008014: E0511000 80050039
	s_add_u32 m0, 0x600, s49                                   // 00000000801C: 807C31FF 00000600
	v_mfma_i32_16x16x32_i8 v[88:91], a[102:103], a[94:95], v[88:91]// 000000008024: D3D70058 1D62BD66
	s_waitcnt vmcnt(10)                                        // 00000000802C: BF8C0F7A
	v_mfma_i32_16x16x32_i8 v[92:95], a[104:105], a[48:49], v[92:95]// 000000008030: D3D7005C 1D726168
	buffer_load_dword v58, s[20:23], 0 offen lds               // 000000008038: E0511000 8005003A
	s_add_u32 m0, 0x700, s49                                   // 000000008040: 807C31FF 00000700
	v_mfma_i32_16x16x32_i8 v[92:95], a[106:107], a[50:51], v[92:95]// 000000008048: D3D7005C 1D72656A
	v_mfma_i32_16x16x32_i8 v[92:95], a[108:109], a[52:53], v[92:95]// 000000008050: D3D7005C 1D72696C
	buffer_load_dword v59, s[20:23], 0 offen lds               // 000000008058: E0511000 8005003B
	s_add_u32 m0, 0x800, s49                                   // 000000008060: 807C31FF 00000800
	v_mfma_i32_16x16x32_i8 v[92:95], a[110:111], a[54:55], v[92:95]// 000000008068: D3D7005C 1D726D6E
	v_mfma_i32_16x16x32_i8 v[96:99], a[104:105], a[56:57], v[96:99]// 000000008070: D3D70060 1D827168
	buffer_load_dword v60, s[20:23], 0 offen lds               // 000000008078: E0511000 8005003C
	s_add_u32 m0, 0x900, s49                                   // 000000008080: 807C31FF 00000900
	v_mfma_i32_16x16x32_i8 v[96:99], a[106:107], a[58:59], v[96:99]// 000000008088: D3D70060 1D82756A
	v_mfma_i32_16x16x32_i8 v[96:99], a[108:109], a[60:61], v[96:99]// 000000008090: D3D70060 1D82796C
	buffer_load_dword v61, s[20:23], 0 offen lds               // 000000008098: E0511000 8005003D
	s_add_u32 m0, 0xa00, s49                                   // 0000000080A0: 807C31FF 00000A00
	v_mfma_i32_16x16x32_i8 v[96:99], a[110:111], a[62:63], v[96:99]// 0000000080A8: D3D70060 1D827D6E
	v_mfma_i32_16x16x32_i8 v[100:103], a[104:105], a[64:65], v[100:103]// 0000000080B0: D3D70064 1D928168
	buffer_load_dword v62, s[20:23], 0 offen lds               // 0000000080B8: E0511000 8005003E
	s_add_u32 m0, 0xb00, s49                                   // 0000000080C0: 807C31FF 00000B00
	v_mfma_i32_16x16x32_i8 v[100:103], a[106:107], a[66:67], v[100:103]// 0000000080C8: D3D70064 1D92856A
	v_mfma_i32_16x16x32_i8 v[100:103], a[108:109], a[68:69], v[100:103]// 0000000080D0: D3D70064 1D92896C
	buffer_load_dword v63, s[20:23], 0 offen lds               // 0000000080D8: E0511000 8005003F
	s_add_u32 m0, 0, s48                                       // 0000000080E0: 807C3080
	v_mfma_i32_16x16x32_i8 v[100:103], a[110:111], a[70:71], v[100:103]// 0000000080E4: D3D70064 1D928D6E
	v_mfma_i32_16x16x32_i8 v[104:107], a[104:105], a[72:73], v[104:107]// 0000000080EC: D3D70068 1DA29168
	v_mfma_i32_16x16x32_i8 v[104:107], a[106:107], a[74:75], v[104:107]// 0000000080F4: D3D70068 1DA2956A
	v_mfma_i32_16x16x32_i8 v[104:107], a[108:109], a[76:77], v[104:107]// 0000000080FC: D3D70068 1DA2996C
	v_mfma_i32_16x16x32_i8 v[104:107], a[110:111], a[78:79], v[104:107]// 000000008104: D3D70068 1DA29D6E
	v_mfma_i32_16x16x32_i8 v[108:111], a[104:105], a[80:81], v[108:111]// 00000000810C: D3D7006C 1DB2A168
	v_mfma_i32_16x16x32_i8 v[108:111], a[106:107], a[82:83], v[108:111]// 000000008114: D3D7006C 1DB2A56A
	v_mfma_i32_16x16x32_i8 v[108:111], a[108:109], a[84:85], v[108:111]// 00000000811C: D3D7006C 1DB2A96C
	v_mfma_i32_16x16x32_i8 v[108:111], a[110:111], a[86:87], v[108:111]// 000000008124: D3D7006C 1DB2AD6E
	v_mfma_i32_16x16x32_i8 v[112:115], a[104:105], a[88:89], v[112:115]// 00000000812C: D3D70070 1DC2B168
	v_mfma_i32_16x16x32_i8 v[112:115], a[106:107], a[90:91], v[112:115]// 000000008134: D3D70070 1DC2B56A
	s_add_u32 s60, 0x80, s80                                   // 00000000813C: 803C50FF 00000080
	s_cmp_lt_u32 s60, s81                                      // 000000008144: BF0A513C
	s_cselect_b32 s83, s83, 0                                  // 000000008148: 85538053
	v_mfma_i32_16x16x32_i8 v[112:115], a[108:109], a[92:93], v[112:115]// 00000000814C: D3D70070 1DC2B96C
	v_mfma_i32_16x16x32_i8 v[112:115], a[110:111], a[94:95], v[112:115]// 000000008154: D3D70070 1DC2BD6E
	s_waitcnt vmcnt(12)                                        // 00000000815C: BF8C0F7C
	v_mfma_i32_16x16x32_i8 v[116:119], a[112:113], a[48:49], v[116:119]// 000000008160: D3D70074 1DD26170
	buffer_load_dwordx4 a[96:99], v64, s[24:27], 0 offen       // 000000008168: E05C1000 80866040
	v_mfma_i32_16x16x32_i8 v[116:119], a[114:115], a[50:51], v[116:119]// 000000008170: D3D70074 1DD26572
	v_mfma_i32_16x16x32_i8 v[116:119], a[116:117], a[52:53], v[116:119]// 000000008178: D3D70074 1DD26974
	ds_read_b128 a[0:3], v2                                    // 000000008180: DBFE0000 00000002
	ds_read_b128 a[4:7], v2 offset:64                          // 000000008188: DBFE0040 04000002
	v_mfma_i32_16x16x32_i8 v[116:119], a[118:119], a[54:55], v[116:119]// 000000008190: D3D70074 1DD26D76
	v_mfma_i32_16x16x32_i8 v[140:143], a[120:121], a[48:49], v[140:143]// 000000008198: D3D7008C 1E326178
	buffer_load_dwordx4 a[100:103], v64, s[24:27], 0 offen offset:1024// 0000000081A0: E05C1400 80866440
	v_mfma_i32_16x16x32_i8 v[140:143], a[122:123], a[50:51], v[140:143]// 0000000081A8: D3D7008C 1E32657A
	v_mfma_i32_16x16x32_i8 v[140:143], a[124:125], a[52:53], v[140:143]// 0000000081B0: D3D7008C 1E32697C
	ds_read_b128 a[8:11], v2 offset:512                        // 0000000081B8: DBFE0200 08000002
	ds_read_b128 a[12:15], v2 offset:576                       // 0000000081C0: DBFE0240 0C000002
	v_mfma_i32_16x16x32_i8 v[140:143], a[126:127], a[54:55], v[140:143]// 0000000081C8: D3D7008C 1E326D7E
	v_mfma_i32_16x16x32_i8 v[120:123], a[112:113], a[56:57], v[120:123]// 0000000081D0: D3D70078 1DE27170
	buffer_load_dwordx4 a[104:107], v65, s[24:27], 0 offen     // 0000000081D8: E05C1000 80866841
	v_mfma_i32_16x16x32_i8 v[120:123], a[114:115], a[58:59], v[120:123]// 0000000081E0: D3D70078 1DE27572
	v_mfma_i32_16x16x32_i8 v[120:123], a[116:117], a[60:61], v[120:123]// 0000000081E8: D3D70078 1DE27974
	ds_read_b128 a[16:19], v2 offset:1024                      // 0000000081F0: DBFE0400 10000002
	ds_read_b128 a[20:23], v2 offset:1088                      // 0000000081F8: DBFE0440 14000002
	v_mfma_i32_16x16x32_i8 v[120:123], a[118:119], a[62:63], v[120:123]// 000000008200: D3D70078 1DE27D76
	v_mfma_i32_16x16x32_i8 v[144:147], a[120:121], a[56:57], v[144:147]// 000000008208: D3D70090 1E427178
	buffer_load_dwordx4 a[108:111], v65, s[24:27], 0 offen offset:1024// 000000008210: E05C1400 80866C41
	v_mfma_i32_16x16x32_i8 v[144:147], a[122:123], a[58:59], v[144:147]// 000000008218: D3D70090 1E42757A
	v_mfma_i32_16x16x32_i8 v[144:147], a[124:125], a[60:61], v[144:147]// 000000008220: D3D70090 1E42797C
	ds_read_b128 a[24:27], v2 offset:1536                      // 000000008228: DBFE0600 18000002
	ds_read_b128 a[28:31], v2 offset:1600                      // 000000008230: DBFE0640 1C000002
	v_mfma_i32_16x16x32_i8 v[144:147], a[126:127], a[62:63], v[144:147]// 000000008238: D3D70090 1E427D7E
	v_mfma_i32_16x16x32_i8 v[124:127], a[112:113], a[64:65], v[124:127]// 000000008240: D3D7007C 1DF28170
	v_mfma_i32_16x16x32_i8 v[124:127], a[114:115], a[66:67], v[124:127]// 000000008248: D3D7007C 1DF28572
	v_mfma_i32_16x16x32_i8 v[124:127], a[116:117], a[68:69], v[124:127]// 000000008250: D3D7007C 1DF28974
	ds_read_b128 a[32:35], v2 offset:2048                      // 000000008258: DBFE0800 20000002
	ds_read_b128 a[36:39], v2 offset:2112                      // 000000008260: DBFE0840 24000002
	v_mfma_i32_16x16x32_i8 v[124:127], a[118:119], a[70:71], v[124:127]// 000000008268: D3D7007C 1DF28D76
	v_mfma_i32_16x16x32_i8 v[148:151], a[120:121], a[64:65], v[148:151]// 000000008270: D3D70094 1E528178
	v_mfma_i32_16x16x32_i8 v[148:151], a[122:123], a[66:67], v[148:151]// 000000008278: D3D70094 1E52857A
	v_mfma_i32_16x16x32_i8 v[148:151], a[124:125], a[68:69], v[148:151]// 000000008280: D3D70094 1E52897C
	ds_read_b128 a[40:43], v2 offset:2560                      // 000000008288: DBFE0A00 28000002
	ds_read_b128 a[44:47], v2 offset:2624                      // 000000008290: DBFE0A40 2C000002
	v_mfma_i32_16x16x32_i8 v[148:151], a[126:127], a[70:71], v[148:151]// 000000008298: D3D70094 1E528D7E
	v_mfma_i32_16x16x32_i8 v[128:131], a[112:113], a[72:73], v[128:131]// 0000000082A0: D3D70080 1E029170
	v_mfma_i32_16x16x32_i8 v[128:131], a[114:115], a[74:75], v[128:131]// 0000000082A8: D3D70080 1E029572
	v_mfma_i32_16x16x32_i8 v[128:131], a[116:117], a[76:77], v[128:131]// 0000000082B0: D3D70080 1E029974
	v_mfma_i32_16x16x32_i8 v[128:131], a[118:119], a[78:79], v[128:131]// 0000000082B8: D3D70080 1E029D76
	v_mfma_i32_16x16x32_i8 v[152:155], a[120:121], a[72:73], v[152:155]// 0000000082C0: D3D70098 1E629178
	v_mfma_i32_16x16x32_i8 v[152:155], a[122:123], a[74:75], v[152:155]// 0000000082C8: D3D70098 1E62957A
	v_mfma_i32_16x16x32_i8 v[152:155], a[124:125], a[76:77], v[152:155]// 0000000082D0: D3D70098 1E62997C
	v_mfma_i32_16x16x32_i8 v[152:155], a[126:127], a[78:79], v[152:155]// 0000000082D8: D3D70098 1E629D7E
	v_mfma_i32_16x16x32_i8 v[132:135], a[112:113], a[80:81], v[132:135]// 0000000082E0: D3D70084 1E12A170
	v_mfma_i32_16x16x32_i8 v[132:135], a[114:115], a[82:83], v[132:135]// 0000000082E8: D3D70084 1E12A572
	v_mfma_i32_16x16x32_i8 v[132:135], a[116:117], a[84:85], v[132:135]// 0000000082F0: D3D70084 1E12A974
	v_mfma_i32_16x16x32_i8 v[132:135], a[118:119], a[86:87], v[132:135]// 0000000082F8: D3D70084 1E12AD76
	v_mfma_i32_16x16x32_i8 v[156:159], a[120:121], a[80:81], v[156:159]// 000000008300: D3D7009C 1E72A178
	v_mfma_i32_16x16x32_i8 v[156:159], a[122:123], a[82:83], v[156:159]// 000000008308: D3D7009C 1E72A57A
	v_mfma_i32_16x16x32_i8 v[156:159], a[124:125], a[84:85], v[156:159]// 000000008310: D3D7009C 1E72A97C
	v_mfma_i32_16x16x32_i8 v[156:159], a[126:127], a[86:87], v[156:159]// 000000008318: D3D7009C 1E72AD7E
	v_mfma_i32_16x16x32_i8 v[136:139], a[112:113], a[88:89], v[136:139]// 000000008320: D3D70088 1E22B170
	v_mfma_i32_16x16x32_i8 v[136:139], a[114:115], a[90:91], v[136:139]// 000000008328: D3D70088 1E22B572
	v_mfma_i32_16x16x32_i8 v[136:139], a[116:117], a[92:93], v[136:139]// 000000008330: D3D70088 1E22B974
	s_add_u32 s60, 0x180, s80                                  // 000000008338: 803C50FF 00000180
	s_cmp_lt_u32 s60, s81                                      // 000000008340: BF0A513C
	s_cselect_b32 s57, s57, 0                                  // 000000008344: 85398039
	v_mfma_i32_16x16x32_i8 v[136:139], a[118:119], a[94:95], v[136:139]// 000000008348: D3D70088 1E22BD76
	s_add_u32 s60, 0x100, s80                                  // 000000008350: 803C50FF 00000100
	s_cmp_lt_u32 s60, s81                                      // 000000008358: BF0A513C
	s_cselect_b32 s58, s58, 0                                  // 00000000835C: 853A803A
	v_mfma_i32_16x16x32_i8 v[160:163], a[120:121], a[88:89], v[160:163]// 000000008360: D3D700A0 1E82B178
	s_add_u32 s24, s58, s24                                    // 000000008368: 8018183A
	s_addc_u32 s25, 0, s25                                     // 00000000836C: 82191980
	v_mfma_i32_16x16x32_i8 v[160:163], a[122:123], a[90:91], v[160:163]// 000000008370: D3D700A0 1E82B57A
	s_add_u32 s20, s57, s20                                    // 000000008378: 80141439
	s_addc_u32 s21, 0, s21                                     // 00000000837C: 82151580
	v_mfma_i32_16x16x32_i8 v[160:163], a[124:125], a[92:93], v[160:163]// 000000008380: D3D700A0 1E82B97C
	s_add_u32 s84, s83, s84                                    // 000000008388: 80545453
	s_addc_u32 s85, 0, s85                                     // 00000000838C: 82555580
	v_mfma_i32_16x16x32_i8 v[160:163], a[126:127], a[94:95], v[160:163]// 000000008390: D3D700A0 1E82BD7E
	s_addk_i32 s80, 0x80                                       // 000000008398: B7500080
	s_cmp_lt_i32 s80, s81                                      // 00000000839C: BF045150
	s_cbranch_scc0 label_166D                                  // 0000000083A0: BF840001
	s_branch label_140C                                        // 0000000083A4: BF82FD9F

00000000000083a8 <label_166D>:
	v_cvt_f32_i32_e32 v68, v68                                 // 0000000083A8: 7E880B44
	v_cvt_f32_i32_e32 v69, v69                                 // 0000000083AC: 7E8A0B45
	v_cvt_f32_i32_e32 v70, v70                                 // 0000000083B0: 7E8C0B46
	v_cvt_f32_i32_e32 v71, v71                                 // 0000000083B4: 7E8E0B47
	v_mul_f32_dpp v68, v24, v68 row_newbcast:0 row_mask:0xf bank_mask:0xf// 0000000083B8: 0A8888FA FF015018
	v_mul_f32_dpp v69, v24, v69 row_newbcast:1 row_mask:0xf bank_mask:0xf// 0000000083C0: 0A8A8AFA FF015118
	v_mul_f32_dpp v70, v24, v70 row_newbcast:2 row_mask:0xf bank_mask:0xf// 0000000083C8: 0A8C8CFA FF015218
	v_mul_f32_dpp v71, v24, v71 row_newbcast:3 row_mask:0xf bank_mask:0xf// 0000000083D0: 0A8E8EFA FF015318
	v_cvt_f32_i32_e32 v72, v72                                 // 0000000083D8: 7E900B48
	v_cvt_f32_i32_e32 v73, v73                                 // 0000000083DC: 7E920B49
	v_cvt_f32_i32_e32 v74, v74                                 // 0000000083E0: 7E940B4A
	v_cvt_f32_i32_e32 v75, v75                                 // 0000000083E4: 7E960B4B
	v_mul_f32_dpp v72, v24, v72 row_newbcast:0 row_mask:0xf bank_mask:0xf// 0000000083E8: 0A9090FA FF015018
	v_mul_f32_dpp v73, v24, v73 row_newbcast:1 row_mask:0xf bank_mask:0xf// 0000000083F0: 0A9292FA FF015118
	v_mul_f32_dpp v74, v24, v74 row_newbcast:2 row_mask:0xf bank_mask:0xf// 0000000083F8: 0A9494FA FF015218
	v_mul_f32_dpp v75, v24, v75 row_newbcast:3 row_mask:0xf bank_mask:0xf// 000000008400: 0A9696FA FF015318
	v_cvt_f32_i32_e32 v76, v76                                 // 000000008408: 7E980B4C
	v_cvt_f32_i32_e32 v77, v77                                 // 00000000840C: 7E9A0B4D
	v_cvt_f32_i32_e32 v78, v78                                 // 000000008410: 7E9C0B4E
	v_cvt_f32_i32_e32 v79, v79                                 // 000000008414: 7E9E0B4F
	v_mul_f32_dpp v76, v24, v76 row_newbcast:0 row_mask:0xf bank_mask:0xf// 000000008418: 0A9898FA FF015018
	v_mul_f32_dpp v77, v24, v77 row_newbcast:1 row_mask:0xf bank_mask:0xf// 000000008420: 0A9A9AFA FF015118
	v_mul_f32_dpp v78, v24, v78 row_newbcast:2 row_mask:0xf bank_mask:0xf// 000000008428: 0A9C9CFA FF015218
	v_mul_f32_dpp v79, v24, v79 row_newbcast:3 row_mask:0xf bank_mask:0xf// 000000008430: 0A9E9EFA FF015318
	v_cvt_f32_i32_e32 v80, v80                                 // 000000008438: 7EA00B50
	v_cvt_f32_i32_e32 v81, v81                                 // 00000000843C: 7EA20B51
	v_cvt_f32_i32_e32 v82, v82                                 // 000000008440: 7EA40B52
	v_cvt_f32_i32_e32 v83, v83                                 // 000000008444: 7EA60B53
	v_mul_f32_dpp v80, v24, v80 row_newbcast:0 row_mask:0xf bank_mask:0xf// 000000008448: 0AA0A0FA FF015018
	v_mul_f32_dpp v81, v24, v81 row_newbcast:1 row_mask:0xf bank_mask:0xf// 000000008450: 0AA2A2FA FF015118
	v_mul_f32_dpp v82, v24, v82 row_newbcast:2 row_mask:0xf bank_mask:0xf// 000000008458: 0AA4A4FA FF015218
	v_mul_f32_dpp v83, v24, v83 row_newbcast:3 row_mask:0xf bank_mask:0xf// 000000008460: 0AA6A6FA FF015318
	v_cvt_f32_i32_e32 v84, v84                                 // 000000008468: 7EA80B54
	v_cvt_f32_i32_e32 v85, v85                                 // 00000000846C: 7EAA0B55
	v_cvt_f32_i32_e32 v86, v86                                 // 000000008470: 7EAC0B56
	v_cvt_f32_i32_e32 v87, v87                                 // 000000008474: 7EAE0B57
	v_mul_f32_dpp v84, v24, v84 row_newbcast:0 row_mask:0xf bank_mask:0xf// 000000008478: 0AA8A8FA FF015018
	v_mul_f32_dpp v85, v24, v85 row_newbcast:1 row_mask:0xf bank_mask:0xf// 000000008480: 0AAAAAFA FF015118
	v_mul_f32_dpp v86, v24, v86 row_newbcast:2 row_mask:0xf bank_mask:0xf// 000000008488: 0AACACFA FF015218
	v_mul_f32_dpp v87, v24, v87 row_newbcast:3 row_mask:0xf bank_mask:0xf// 000000008490: 0AAEAEFA FF015318
	v_cvt_f32_i32_e32 v88, v88                                 // 000000008498: 7EB00B58
	v_cvt_f32_i32_e32 v89, v89                                 // 00000000849C: 7EB20B59
	v_cvt_f32_i32_e32 v90, v90                                 // 0000000084A0: 7EB40B5A
	v_cvt_f32_i32_e32 v91, v91                                 // 0000000084A4: 7EB60B5B
	v_mul_f32_dpp v88, v24, v88 row_newbcast:0 row_mask:0xf bank_mask:0xf// 0000000084A8: 0AB0B0FA FF015018
	v_mul_f32_dpp v89, v24, v89 row_newbcast:1 row_mask:0xf bank_mask:0xf// 0000000084B0: 0AB2B2FA FF015118
	v_mul_f32_dpp v90, v24, v90 row_newbcast:2 row_mask:0xf bank_mask:0xf// 0000000084B8: 0AB4B4FA FF015218
	v_mul_f32_dpp v91, v24, v91 row_newbcast:3 row_mask:0xf bank_mask:0xf// 0000000084C0: 0AB6B6FA FF015318
	v_cvt_f32_i32_e32 v92, v92                                 // 0000000084C8: 7EB80B5C
	v_cvt_f32_i32_e32 v93, v93                                 // 0000000084CC: 7EBA0B5D
	v_cvt_f32_i32_e32 v94, v94                                 // 0000000084D0: 7EBC0B5E
	v_cvt_f32_i32_e32 v95, v95                                 // 0000000084D4: 7EBE0B5F
	v_mul_f32_dpp v92, v24, v92 row_newbcast:4 row_mask:0xf bank_mask:0xf// 0000000084D8: 0AB8B8FA FF015418
	v_mul_f32_dpp v93, v24, v93 row_newbcast:5 row_mask:0xf bank_mask:0xf// 0000000084E0: 0ABABAFA FF015518
	v_mul_f32_dpp v94, v24, v94 row_newbcast:6 row_mask:0xf bank_mask:0xf// 0000000084E8: 0ABCBCFA FF015618
	v_mul_f32_dpp v95, v24, v95 row_newbcast:7 row_mask:0xf bank_mask:0xf// 0000000084F0: 0ABEBEFA FF015718
	v_cvt_f32_i32_e32 v96, v96                                 // 0000000084F8: 7EC00B60
	v_cvt_f32_i32_e32 v97, v97                                 // 0000000084FC: 7EC20B61
	v_cvt_f32_i32_e32 v98, v98                                 // 000000008500: 7EC40B62
	v_cvt_f32_i32_e32 v99, v99                                 // 000000008504: 7EC60B63
	v_mul_f32_dpp v96, v24, v96 row_newbcast:4 row_mask:0xf bank_mask:0xf// 000000008508: 0AC0C0FA FF015418
	v_mul_f32_dpp v97, v24, v97 row_newbcast:5 row_mask:0xf bank_mask:0xf// 000000008510: 0AC2C2FA FF015518
	v_mul_f32_dpp v98, v24, v98 row_newbcast:6 row_mask:0xf bank_mask:0xf// 000000008518: 0AC4C4FA FF015618
	v_mul_f32_dpp v99, v24, v99 row_newbcast:7 row_mask:0xf bank_mask:0xf// 000000008520: 0AC6C6FA FF015718
	v_cvt_f32_i32_e32 v100, v100                               // 000000008528: 7EC80B64
	v_cvt_f32_i32_e32 v101, v101                               // 00000000852C: 7ECA0B65
	v_cvt_f32_i32_e32 v102, v102                               // 000000008530: 7ECC0B66
	v_cvt_f32_i32_e32 v103, v103                               // 000000008534: 7ECE0B67
	v_mul_f32_dpp v100, v24, v100 row_newbcast:4 row_mask:0xf bank_mask:0xf// 000000008538: 0AC8C8FA FF015418
	v_mul_f32_dpp v101, v24, v101 row_newbcast:5 row_mask:0xf bank_mask:0xf// 000000008540: 0ACACAFA FF015518
	v_mul_f32_dpp v102, v24, v102 row_newbcast:6 row_mask:0xf bank_mask:0xf// 000000008548: 0ACCCCFA FF015618
	v_mul_f32_dpp v103, v24, v103 row_newbcast:7 row_mask:0xf bank_mask:0xf// 000000008550: 0ACECEFA FF015718
	v_cvt_f32_i32_e32 v104, v104                               // 000000008558: 7ED00B68
	v_cvt_f32_i32_e32 v105, v105                               // 00000000855C: 7ED20B69
	v_cvt_f32_i32_e32 v106, v106                               // 000000008560: 7ED40B6A
	v_cvt_f32_i32_e32 v107, v107                               // 000000008564: 7ED60B6B
	v_mul_f32_dpp v104, v24, v104 row_newbcast:4 row_mask:0xf bank_mask:0xf// 000000008568: 0AD0D0FA FF015418
	v_mul_f32_dpp v105, v24, v105 row_newbcast:5 row_mask:0xf bank_mask:0xf// 000000008570: 0AD2D2FA FF015518
	v_mul_f32_dpp v106, v24, v106 row_newbcast:6 row_mask:0xf bank_mask:0xf// 000000008578: 0AD4D4FA FF015618
	v_mul_f32_dpp v107, v24, v107 row_newbcast:7 row_mask:0xf bank_mask:0xf// 000000008580: 0AD6D6FA FF015718
	v_cvt_f32_i32_e32 v108, v108                               // 000000008588: 7ED80B6C
	v_cvt_f32_i32_e32 v109, v109                               // 00000000858C: 7EDA0B6D
	v_cvt_f32_i32_e32 v110, v110                               // 000000008590: 7EDC0B6E
	v_cvt_f32_i32_e32 v111, v111                               // 000000008594: 7EDE0B6F
	v_mul_f32_dpp v108, v24, v108 row_newbcast:4 row_mask:0xf bank_mask:0xf// 000000008598: 0AD8D8FA FF015418
	v_mul_f32_dpp v109, v24, v109 row_newbcast:5 row_mask:0xf bank_mask:0xf// 0000000085A0: 0ADADAFA FF015518
	v_mul_f32_dpp v110, v24, v110 row_newbcast:6 row_mask:0xf bank_mask:0xf// 0000000085A8: 0ADCDCFA FF015618
	v_mul_f32_dpp v111, v24, v111 row_newbcast:7 row_mask:0xf bank_mask:0xf// 0000000085B0: 0ADEDEFA FF015718
	v_cvt_f32_i32_e32 v112, v112                               // 0000000085B8: 7EE00B70
	v_cvt_f32_i32_e32 v113, v113                               // 0000000085BC: 7EE20B71
	v_cvt_f32_i32_e32 v114, v114                               // 0000000085C0: 7EE40B72
	v_cvt_f32_i32_e32 v115, v115                               // 0000000085C4: 7EE60B73
	v_mul_f32_dpp v112, v24, v112 row_newbcast:4 row_mask:0xf bank_mask:0xf// 0000000085C8: 0AE0E0FA FF015418
	v_mul_f32_dpp v113, v24, v113 row_newbcast:5 row_mask:0xf bank_mask:0xf// 0000000085D0: 0AE2E2FA FF015518
	v_mul_f32_dpp v114, v24, v114 row_newbcast:6 row_mask:0xf bank_mask:0xf// 0000000085D8: 0AE4E4FA FF015618
	v_mul_f32_dpp v115, v24, v115 row_newbcast:7 row_mask:0xf bank_mask:0xf// 0000000085E0: 0AE6E6FA FF015718
	v_cvt_f32_i32_e32 v116, v116                               // 0000000085E8: 7EE80B74
	v_cvt_f32_i32_e32 v117, v117                               // 0000000085EC: 7EEA0B75
	v_cvt_f32_i32_e32 v118, v118                               // 0000000085F0: 7EEC0B76
	v_cvt_f32_i32_e32 v119, v119                               // 0000000085F4: 7EEE0B77
	v_mul_f32_dpp v116, v26, v116 row_newbcast:0 row_mask:0xf bank_mask:0xf// 0000000085F8: 0AE8E8FA FF01501A
	v_mul_f32_dpp v117, v26, v117 row_newbcast:1 row_mask:0xf bank_mask:0xf// 000000008600: 0AEAEAFA FF01511A
	v_mul_f32_dpp v118, v26, v118 row_newbcast:2 row_mask:0xf bank_mask:0xf// 000000008608: 0AECECFA FF01521A
	v_mul_f32_dpp v119, v26, v119 row_newbcast:3 row_mask:0xf bank_mask:0xf// 000000008610: 0AEEEEFA FF01531A
	v_cvt_f32_i32_e32 v120, v120                               // 000000008618: 7EF00B78
	v_cvt_f32_i32_e32 v121, v121                               // 00000000861C: 7EF20B79
	v_cvt_f32_i32_e32 v122, v122                               // 000000008620: 7EF40B7A
	v_cvt_f32_i32_e32 v123, v123                               // 000000008624: 7EF60B7B
	v_mul_f32_dpp v120, v26, v120 row_newbcast:0 row_mask:0xf bank_mask:0xf// 000000008628: 0AF0F0FA FF01501A
	v_mul_f32_dpp v121, v26, v121 row_newbcast:1 row_mask:0xf bank_mask:0xf// 000000008630: 0AF2F2FA FF01511A
	v_mul_f32_dpp v122, v26, v122 row_newbcast:2 row_mask:0xf bank_mask:0xf// 000000008638: 0AF4F4FA FF01521A
	v_mul_f32_dpp v123, v26, v123 row_newbcast:3 row_mask:0xf bank_mask:0xf// 000000008640: 0AF6F6FA FF01531A
	v_cvt_f32_i32_e32 v124, v124                               // 000000008648: 7EF80B7C
	v_cvt_f32_i32_e32 v125, v125                               // 00000000864C: 7EFA0B7D
	v_cvt_f32_i32_e32 v126, v126                               // 000000008650: 7EFC0B7E
	v_cvt_f32_i32_e32 v127, v127                               // 000000008654: 7EFE0B7F
	v_mul_f32_dpp v124, v26, v124 row_newbcast:0 row_mask:0xf bank_mask:0xf// 000000008658: 0AF8F8FA FF01501A
	v_mul_f32_dpp v125, v26, v125 row_newbcast:1 row_mask:0xf bank_mask:0xf// 000000008660: 0AFAFAFA FF01511A
	v_mul_f32_dpp v126, v26, v126 row_newbcast:2 row_mask:0xf bank_mask:0xf// 000000008668: 0AFCFCFA FF01521A
	v_mul_f32_dpp v127, v26, v127 row_newbcast:3 row_mask:0xf bank_mask:0xf// 000000008670: 0AFEFEFA FF01531A
	v_cvt_f32_i32_e32 v128, v128                               // 000000008678: 7F000B80
	v_cvt_f32_i32_e32 v129, v129                               // 00000000867C: 7F020B81
	v_cvt_f32_i32_e32 v130, v130                               // 000000008680: 7F040B82
	v_cvt_f32_i32_e32 v131, v131                               // 000000008684: 7F060B83
	v_mul_f32_dpp v128, v26, v128 row_newbcast:0 row_mask:0xf bank_mask:0xf// 000000008688: 0B0100FA FF01501A
	v_mul_f32_dpp v129, v26, v129 row_newbcast:1 row_mask:0xf bank_mask:0xf// 000000008690: 0B0302FA FF01511A
	v_mul_f32_dpp v130, v26, v130 row_newbcast:2 row_mask:0xf bank_mask:0xf// 000000008698: 0B0504FA FF01521A
	v_mul_f32_dpp v131, v26, v131 row_newbcast:3 row_mask:0xf bank_mask:0xf// 0000000086A0: 0B0706FA FF01531A
	v_cvt_f32_i32_e32 v132, v132                               // 0000000086A8: 7F080B84
	v_cvt_f32_i32_e32 v133, v133                               // 0000000086AC: 7F0A0B85
	v_cvt_f32_i32_e32 v134, v134                               // 0000000086B0: 7F0C0B86
	v_cvt_f32_i32_e32 v135, v135                               // 0000000086B4: 7F0E0B87
	v_mul_f32_dpp v132, v26, v132 row_newbcast:0 row_mask:0xf bank_mask:0xf// 0000000086B8: 0B0908FA FF01501A
	v_mul_f32_dpp v133, v26, v133 row_newbcast:1 row_mask:0xf bank_mask:0xf// 0000000086C0: 0B0B0AFA FF01511A
	v_mul_f32_dpp v134, v26, v134 row_newbcast:2 row_mask:0xf bank_mask:0xf// 0000000086C8: 0B0D0CFA FF01521A
	v_mul_f32_dpp v135, v26, v135 row_newbcast:3 row_mask:0xf bank_mask:0xf// 0000000086D0: 0B0F0EFA FF01531A
	v_cvt_f32_i32_e32 v136, v136                               // 0000000086D8: 7F100B88
	v_cvt_f32_i32_e32 v137, v137                               // 0000000086DC: 7F120B89
	v_cvt_f32_i32_e32 v138, v138                               // 0000000086E0: 7F140B8A
	v_cvt_f32_i32_e32 v139, v139                               // 0000000086E4: 7F160B8B
	v_mul_f32_dpp v136, v26, v136 row_newbcast:0 row_mask:0xf bank_mask:0xf// 0000000086E8: 0B1110FA FF01501A
	v_mul_f32_dpp v137, v26, v137 row_newbcast:1 row_mask:0xf bank_mask:0xf// 0000000086F0: 0B1312FA FF01511A
	v_mul_f32_dpp v138, v26, v138 row_newbcast:2 row_mask:0xf bank_mask:0xf// 0000000086F8: 0B1514FA FF01521A
	v_mul_f32_dpp v139, v26, v139 row_newbcast:3 row_mask:0xf bank_mask:0xf// 000000008700: 0B1716FA FF01531A
	v_cvt_f32_i32_e32 v140, v140                               // 000000008708: 7F180B8C
	v_cvt_f32_i32_e32 v141, v141                               // 00000000870C: 7F1A0B8D
	v_cvt_f32_i32_e32 v142, v142                               // 000000008710: 7F1C0B8E
	v_cvt_f32_i32_e32 v143, v143                               // 000000008714: 7F1E0B8F
	v_mul_f32_dpp v140, v26, v140 row_newbcast:4 row_mask:0xf bank_mask:0xf// 000000008718: 0B1918FA FF01541A
	v_mul_f32_dpp v141, v26, v141 row_newbcast:5 row_mask:0xf bank_mask:0xf// 000000008720: 0B1B1AFA FF01551A
	v_mul_f32_dpp v142, v26, v142 row_newbcast:6 row_mask:0xf bank_mask:0xf// 000000008728: 0B1D1CFA FF01561A
	v_mul_f32_dpp v143, v26, v143 row_newbcast:7 row_mask:0xf bank_mask:0xf// 000000008730: 0B1F1EFA FF01571A
	v_cvt_f32_i32_e32 v144, v144                               // 000000008738: 7F200B90
	v_cvt_f32_i32_e32 v145, v145                               // 00000000873C: 7F220B91
	v_cvt_f32_i32_e32 v146, v146                               // 000000008740: 7F240B92
	v_cvt_f32_i32_e32 v147, v147                               // 000000008744: 7F260B93
	v_mul_f32_dpp v144, v26, v144 row_newbcast:4 row_mask:0xf bank_mask:0xf// 000000008748: 0B2120FA FF01541A
	v_mul_f32_dpp v145, v26, v145 row_newbcast:5 row_mask:0xf bank_mask:0xf// 000000008750: 0B2322FA FF01551A
	v_mul_f32_dpp v146, v26, v146 row_newbcast:6 row_mask:0xf bank_mask:0xf// 000000008758: 0B2524FA FF01561A
	v_mul_f32_dpp v147, v26, v147 row_newbcast:7 row_mask:0xf bank_mask:0xf// 000000008760: 0B2726FA FF01571A
	v_cvt_f32_i32_e32 v148, v148                               // 000000008768: 7F280B94
	v_cvt_f32_i32_e32 v149, v149                               // 00000000876C: 7F2A0B95
	v_cvt_f32_i32_e32 v150, v150                               // 000000008770: 7F2C0B96
	v_cvt_f32_i32_e32 v151, v151                               // 000000008774: 7F2E0B97
	v_mul_f32_dpp v148, v26, v148 row_newbcast:4 row_mask:0xf bank_mask:0xf// 000000008778: 0B2928FA FF01541A
	v_mul_f32_dpp v149, v26, v149 row_newbcast:5 row_mask:0xf bank_mask:0xf// 000000008780: 0B2B2AFA FF01551A
	v_mul_f32_dpp v150, v26, v150 row_newbcast:6 row_mask:0xf bank_mask:0xf// 000000008788: 0B2D2CFA FF01561A
	v_mul_f32_dpp v151, v26, v151 row_newbcast:7 row_mask:0xf bank_mask:0xf// 000000008790: 0B2F2EFA FF01571A
	v_cvt_f32_i32_e32 v152, v152                               // 000000008798: 7F300B98
	v_cvt_f32_i32_e32 v153, v153                               // 00000000879C: 7F320B99
	v_cvt_f32_i32_e32 v154, v154                               // 0000000087A0: 7F340B9A
	v_cvt_f32_i32_e32 v155, v155                               // 0000000087A4: 7F360B9B
	v_mul_f32_dpp v152, v26, v152 row_newbcast:4 row_mask:0xf bank_mask:0xf// 0000000087A8: 0B3130FA FF01541A
	v_mul_f32_dpp v153, v26, v153 row_newbcast:5 row_mask:0xf bank_mask:0xf// 0000000087B0: 0B3332FA FF01551A
	v_mul_f32_dpp v154, v26, v154 row_newbcast:6 row_mask:0xf bank_mask:0xf// 0000000087B8: 0B3534FA FF01561A
	v_mul_f32_dpp v155, v26, v155 row_newbcast:7 row_mask:0xf bank_mask:0xf// 0000000087C0: 0B3736FA FF01571A
	v_cvt_f32_i32_e32 v156, v156                               // 0000000087C8: 7F380B9C
	v_cvt_f32_i32_e32 v157, v157                               // 0000000087CC: 7F3A0B9D
	v_cvt_f32_i32_e32 v158, v158                               // 0000000087D0: 7F3C0B9E
	v_cvt_f32_i32_e32 v159, v159                               // 0000000087D4: 7F3E0B9F
	v_mul_f32_dpp v156, v26, v156 row_newbcast:4 row_mask:0xf bank_mask:0xf// 0000000087D8: 0B3938FA FF01541A
	v_mul_f32_dpp v157, v26, v157 row_newbcast:5 row_mask:0xf bank_mask:0xf// 0000000087E0: 0B3B3AFA FF01551A
	v_mul_f32_dpp v158, v26, v158 row_newbcast:6 row_mask:0xf bank_mask:0xf// 0000000087E8: 0B3D3CFA FF01561A
	v_mul_f32_dpp v159, v26, v159 row_newbcast:7 row_mask:0xf bank_mask:0xf// 0000000087F0: 0B3F3EFA FF01571A
	v_cvt_f32_i32_e32 v160, v160                               // 0000000087F8: 7F400BA0
	v_cvt_f32_i32_e32 v161, v161                               // 0000000087FC: 7F420BA1
	v_cvt_f32_i32_e32 v162, v162                               // 000000008800: 7F440BA2
	v_cvt_f32_i32_e32 v163, v163                               // 000000008804: 7F460BA3
	v_mul_f32_dpp v160, v26, v160 row_newbcast:4 row_mask:0xf bank_mask:0xf// 000000008808: 0B4140FA FF01541A
	v_mul_f32_dpp v161, v26, v161 row_newbcast:5 row_mask:0xf bank_mask:0xf// 000000008810: 0B4342FA FF01551A
	v_mul_f32_dpp v162, v26, v162 row_newbcast:6 row_mask:0xf bank_mask:0xf// 000000008818: 0B4544FA FF01561A
	v_mul_f32_dpp v163, v26, v163 row_newbcast:7 row_mask:0xf bank_mask:0xf// 000000008820: 0B4746FA FF01571A
	v_mov_b32_e32 v4, v34                                      // 000000008828: 7E080322
	v_mov_b32_e32 v5, v4                                       // 00000000882C: 7E0A0304
	v_pk_mul_f32 v[68:69], v[4:5], v[68:69]                    // 000000008830: D3B14044 18028904
	v_pk_mul_f32 v[116:117], v[4:5], v[116:117]                // 000000008838: D3B14074 1802E904
	v_pk_mul_f32 v[70:71], v[4:5], v[70:71]                    // 000000008840: D3B14046 18028D04
	v_pk_mul_f32 v[118:119], v[4:5], v[118:119]                // 000000008848: D3B14076 1802ED04
	v_pk_mul_f32 v[92:93], v[4:5], v[92:93]                    // 000000008850: D3B1405C 1802B904
	v_pk_mul_f32 v[140:141], v[4:5], v[140:141]                // 000000008858: D3B1408C 18031904
	v_pk_mul_f32 v[94:95], v[4:5], v[94:95]                    // 000000008860: D3B1405E 1802BD04
	v_pk_mul_f32 v[142:143], v[4:5], v[142:143]                // 000000008868: D3B1408E 18031D04
	v_mov_b32_e32 v4, v35                                      // 000000008870: 7E080323
	v_mov_b32_e32 v5, v4                                       // 000000008874: 7E0A0304
	v_pk_mul_f32 v[72:73], v[4:5], v[72:73]                    // 000000008878: D3B14048 18029104
	v_pk_mul_f32 v[120:121], v[4:5], v[120:121]                // 000000008880: D3B14078 1802F104
	v_pk_mul_f32 v[74:75], v[4:5], v[74:75]                    // 000000008888: D3B1404A 18029504
	v_pk_mul_f32 v[122:123], v[4:5], v[122:123]                // 000000008890: D3B1407A 1802F504
	v_pk_mul_f32 v[96:97], v[4:5], v[96:97]                    // 000000008898: D3B14060 1802C104
	v_pk_mul_f32 v[144:145], v[4:5], v[144:145]                // 0000000088A0: D3B14090 18032104
	v_pk_mul_f32 v[98:99], v[4:5], v[98:99]                    // 0000000088A8: D3B14062 1802C504
	v_pk_mul_f32 v[146:147], v[4:5], v[146:147]                // 0000000088B0: D3B14092 18032504
	v_mov_b32_e32 v4, v36                                      // 0000000088B8: 7E080324
	v_mov_b32_e32 v5, v4                                       // 0000000088BC: 7E0A0304
	v_pk_mul_f32 v[76:77], v[4:5], v[76:77]                    // 0000000088C0: D3B1404C 18029904
	v_pk_mul_f32 v[124:125], v[4:5], v[124:125]                // 0000000088C8: D3B1407C 1802F904
	v_pk_mul_f32 v[78:79], v[4:5], v[78:79]                    // 0000000088D0: D3B1404E 18029D04
	v_pk_mul_f32 v[126:127], v[4:5], v[126:127]                // 0000000088D8: D3B1407E 1802FD04
	v_pk_mul_f32 v[100:101], v[4:5], v[100:101]                // 0000000088E0: D3B14064 1802C904
	v_pk_mul_f32 v[148:149], v[4:5], v[148:149]                // 0000000088E8: D3B14094 18032904
	v_pk_mul_f32 v[102:103], v[4:5], v[102:103]                // 0000000088F0: D3B14066 1802CD04
	v_pk_mul_f32 v[150:151], v[4:5], v[150:151]                // 0000000088F8: D3B14096 18032D04
	v_mov_b32_e32 v4, v37                                      // 000000008900: 7E080325
	v_mov_b32_e32 v5, v4                                       // 000000008904: 7E0A0304
	v_pk_mul_f32 v[80:81], v[4:5], v[80:81]                    // 000000008908: D3B14050 1802A104
	v_pk_mul_f32 v[128:129], v[4:5], v[128:129]                // 000000008910: D3B14080 18030104
	v_pk_mul_f32 v[82:83], v[4:5], v[82:83]                    // 000000008918: D3B14052 1802A504
	v_pk_mul_f32 v[130:131], v[4:5], v[130:131]                // 000000008920: D3B14082 18030504
	v_pk_mul_f32 v[104:105], v[4:5], v[104:105]                // 000000008928: D3B14068 1802D104
	v_pk_mul_f32 v[152:153], v[4:5], v[152:153]                // 000000008930: D3B14098 18033104
	v_pk_mul_f32 v[106:107], v[4:5], v[106:107]                // 000000008938: D3B1406A 1802D504
	v_pk_mul_f32 v[154:155], v[4:5], v[154:155]                // 000000008940: D3B1409A 18033504
	v_mov_b32_e32 v4, v38                                      // 000000008948: 7E080326
	v_mov_b32_e32 v5, v4                                       // 00000000894C: 7E0A0304
	v_pk_mul_f32 v[84:85], v[4:5], v[84:85]                    // 000000008950: D3B14054 1802A904
	v_pk_mul_f32 v[132:133], v[4:5], v[132:133]                // 000000008958: D3B14084 18030904
	v_pk_mul_f32 v[86:87], v[4:5], v[86:87]                    // 000000008960: D3B14056 1802AD04
	v_pk_mul_f32 v[134:135], v[4:5], v[134:135]                // 000000008968: D3B14086 18030D04
	v_pk_mul_f32 v[108:109], v[4:5], v[108:109]                // 000000008970: D3B1406C 1802D904
	v_pk_mul_f32 v[156:157], v[4:5], v[156:157]                // 000000008978: D3B1409C 18033904
	v_pk_mul_f32 v[110:111], v[4:5], v[110:111]                // 000000008980: D3B1406E 1802DD04
	v_pk_mul_f32 v[158:159], v[4:5], v[158:159]                // 000000008988: D3B1409E 18033D04
	v_mov_b32_e32 v4, v39                                      // 000000008990: 7E080327
	v_mov_b32_e32 v5, v4                                       // 000000008994: 7E0A0304
	v_pk_mul_f32 v[88:89], v[4:5], v[88:89]                    // 000000008998: D3B14058 1802B104
	v_pk_mul_f32 v[136:137], v[4:5], v[136:137]                // 0000000089A0: D3B14088 18031104
	v_pk_mul_f32 v[90:91], v[4:5], v[90:91]                    // 0000000089A8: D3B1405A 1802B504
	v_pk_mul_f32 v[138:139], v[4:5], v[138:139]                // 0000000089B0: D3B1408A 18031504
	v_pk_mul_f32 v[112:113], v[4:5], v[112:113]                // 0000000089B8: D3B14070 1802E104
	v_pk_mul_f32 v[160:161], v[4:5], v[160:161]                // 0000000089C0: D3B140A0 18034104
	v_pk_mul_f32 v[114:115], v[4:5], v[114:115]                // 0000000089C8: D3B14072 1802E504
	v_pk_mul_f32 v[162:163], v[4:5], v[162:163]                // 0000000089D0: D3B140A2 18034504
	s_cmp_eq_u32 s88, 0                                        // 0000000089D8: BF068058
	s_cbranch_scc0 label_1F0C                                  // 0000000089DC: BF840711
	s_cmp_eq_u32 s89, 0                                        // 0000000089E0: BF068059
	s_cbranch_scc1 label_19E2                                  // 0000000089E4: BF8501E5
	v_mov_b32_e32 v8, v1                                       // 0000000089E8: 7E100301
	v_mov_b32_e32 v9, v1                                       // 0000000089EC: 7E120301
	s_mov_b32 s60, s6                                          // 0000000089F0: BEBC0006
	s_mov_b32 s61, s6                                          // 0000000089F4: BEBD0006
	v_pk_mul_f32 v[4:5], v[68:69], v[68:69]                    // 0000000089F8: D3B14004 18028944
	v_pk_mul_f32 v[6:7], v[70:71], v[70:71]                    // 000000008A00: D3B14006 18028D46
	v_pk_fma_f32 v[4:5], v[4:5], s[78:79], v[8:9]              // 000000008A08: D3B04004 1C209D04
	v_pk_fma_f32 v[6:7], v[6:7], s[78:79], v[8:9]              // 000000008A10: D3B04006 1C209D06
	v_pk_mul_f32 v[4:5], v[4:5], v[68:69]                      // 000000008A18: D3B14004 18028904
	v_pk_mul_f32 v[6:7], v[6:7], v[70:71]                      // 000000008A20: D3B14006 18028D06
	v_pk_mul_f32 v[4:5], v[4:5], s[60:61]                      // 000000008A28: D3B14004 18007904
	v_pk_mul_f32 v[6:7], v[6:7], s[60:61]                      // 000000008A30: D3B14006 18007906
	v_exp_f32_e32 v4, v4                                       // 000000008A38: 7E084104
	v_exp_f32_e32 v5, v5                                       // 000000008A3C: 7E0A4105
	v_exp_f32_e32 v6, v6                                       // 000000008A40: 7E0C4106
	v_exp_f32_e32 v7, v7                                       // 000000008A44: 7E0E4107
	v_add_f32_e64 v4, v4, 1.0                                  // 000000008A48: D1010004 0001E504
	v_add_f32_e64 v5, v5, 1.0                                  // 000000008A50: D1010005 0001E505
	v_add_f32_e64 v6, v6, 1.0                                  // 000000008A58: D1010006 0001E506
	v_add_f32_e64 v7, v7, 1.0                                  // 000000008A60: D1010007 0001E507
	v_rcp_f32_e32 v4, v4                                       // 000000008A68: 7E084504
	v_rcp_f32_e32 v5, v5                                       // 000000008A6C: 7E0A4505
	v_rcp_f32_e32 v6, v6                                       // 000000008A70: 7E0C4506
	v_rcp_f32_e32 v7, v7                                       // 000000008A74: 7E0E4507
	v_mul_f32_e32 v68, v68, v4                                 // 000000008A78: 0A880944
	v_mul_f32_e32 v69, v69, v5                                 // 000000008A7C: 0A8A0B45
	v_mul_f32_e32 v70, v70, v6                                 // 000000008A80: 0A8C0D46
	v_mul_f32_e32 v71, v71, v7                                 // 000000008A84: 0A8E0F47
	v_mul_f32_e32 v68, v68, v116                               // 000000008A88: 0A88E944
	v_mul_f32_e32 v69, v69, v117                               // 000000008A8C: 0A8AEB45
	v_mul_f32_e32 v70, v70, v118                               // 000000008A90: 0A8CED46
	v_mul_f32_e32 v71, v71, v119                               // 000000008A94: 0A8EEF47
	v_pk_mul_f32 v[4:5], v[72:73], v[72:73]                    // 000000008A98: D3B14004 18029148
	v_pk_mul_f32 v[6:7], v[74:75], v[74:75]                    // 000000008AA0: D3B14006 1802954A
	v_pk_fma_f32 v[4:5], v[4:5], s[78:79], v[8:9]              // 000000008AA8: D3B04004 1C209D04
	v_pk_fma_f32 v[6:7], v[6:7], s[78:79], v[8:9]              // 000000008AB0: D3B04006 1C209D06
	v_pk_mul_f32 v[4:5], v[4:5], v[72:73]                      // 000000008AB8: D3B14004 18029104
	v_pk_mul_f32 v[6:7], v[6:7], v[74:75]                      // 000000008AC0: D3B14006 18029506
	v_pk_mul_f32 v[4:5], v[4:5], s[60:61]                      // 000000008AC8: D3B14004 18007904
	v_pk_mul_f32 v[6:7], v[6:7], s[60:61]                      // 000000008AD0: D3B14006 18007906
	v_exp_f32_e32 v4, v4                                       // 000000008AD8: 7E084104
	v_exp_f32_e32 v5, v5                                       // 000000008ADC: 7E0A4105
	v_exp_f32_e32 v6, v6                                       // 000000008AE0: 7E0C4106
	v_exp_f32_e32 v7, v7                                       // 000000008AE4: 7E0E4107
	v_add_f32_e64 v4, v4, 1.0                                  // 000000008AE8: D1010004 0001E504
	v_add_f32_e64 v5, v5, 1.0                                  // 000000008AF0: D1010005 0001E505
	v_add_f32_e64 v6, v6, 1.0                                  // 000000008AF8: D1010006 0001E506
	v_add_f32_e64 v7, v7, 1.0                                  // 000000008B00: D1010007 0001E507
	v_rcp_f32_e32 v4, v4                                       // 000000008B08: 7E084504
	v_rcp_f32_e32 v5, v5                                       // 000000008B0C: 7E0A4505
	v_rcp_f32_e32 v6, v6                                       // 000000008B10: 7E0C4506
	v_rcp_f32_e32 v7, v7                                       // 000000008B14: 7E0E4507
	v_mul_f32_e32 v72, v72, v4                                 // 000000008B18: 0A900948
	v_mul_f32_e32 v73, v73, v5                                 // 000000008B1C: 0A920B49
	v_mul_f32_e32 v74, v74, v6                                 // 000000008B20: 0A940D4A
	v_mul_f32_e32 v75, v75, v7                                 // 000000008B24: 0A960F4B
	v_mul_f32_e32 v72, v72, v120                               // 000000008B28: 0A90F148
	v_mul_f32_e32 v73, v73, v121                               // 000000008B2C: 0A92F349
	v_mul_f32_e32 v74, v74, v122                               // 000000008B30: 0A94F54A
	v_mul_f32_e32 v75, v75, v123                               // 000000008B34: 0A96F74B
	v_pk_mul_f32 v[4:5], v[76:77], v[76:77]                    // 000000008B38: D3B14004 1802994C
	v_pk_mul_f32 v[6:7], v[78:79], v[78:79]                    // 000000008B40: D3B14006 18029D4E
	v_pk_fma_f32 v[4:5], v[4:5], s[78:79], v[8:9]              // 000000008B48: D3B04004 1C209D04
	v_pk_fma_f32 v[6:7], v[6:7], s[78:79], v[8:9]              // 000000008B50: D3B04006 1C209D06
	v_pk_mul_f32 v[4:5], v[4:5], v[76:77]                      // 000000008B58: D3B14004 18029904
	v_pk_mul_f32 v[6:7], v[6:7], v[78:79]                      // 000000008B60: D3B14006 18029D06
	v_pk_mul_f32 v[4:5], v[4:5], s[60:61]                      // 000000008B68: D3B14004 18007904
	v_pk_mul_f32 v[6:7], v[6:7], s[60:61]                      // 000000008B70: D3B14006 18007906
	v_exp_f32_e32 v4, v4                                       // 000000008B78: 7E084104
	v_exp_f32_e32 v5, v5                                       // 000000008B7C: 7E0A4105
	v_exp_f32_e32 v6, v6                                       // 000000008B80: 7E0C4106
	v_exp_f32_e32 v7, v7                                       // 000000008B84: 7E0E4107
	v_add_f32_e64 v4, v4, 1.0                                  // 000000008B88: D1010004 0001E504
	v_add_f32_e64 v5, v5, 1.0                                  // 000000008B90: D1010005 0001E505
	v_add_f32_e64 v6, v6, 1.0                                  // 000000008B98: D1010006 0001E506
	v_add_f32_e64 v7, v7, 1.0                                  // 000000008BA0: D1010007 0001E507
	v_rcp_f32_e32 v4, v4                                       // 000000008BA8: 7E084504
	v_rcp_f32_e32 v5, v5                                       // 000000008BAC: 7E0A4505
	v_rcp_f32_e32 v6, v6                                       // 000000008BB0: 7E0C4506
	v_rcp_f32_e32 v7, v7                                       // 000000008BB4: 7E0E4507
	v_mul_f32_e32 v76, v76, v4                                 // 000000008BB8: 0A98094C
	v_mul_f32_e32 v77, v77, v5                                 // 000000008BBC: 0A9A0B4D
	v_mul_f32_e32 v78, v78, v6                                 // 000000008BC0: 0A9C0D4E
	v_mul_f32_e32 v79, v79, v7                                 // 000000008BC4: 0A9E0F4F
	v_mul_f32_e32 v76, v76, v124                               // 000000008BC8: 0A98F94C
	v_mul_f32_e32 v77, v77, v125                               // 000000008BCC: 0A9AFB4D
	v_mul_f32_e32 v78, v78, v126                               // 000000008BD0: 0A9CFD4E
	v_mul_f32_e32 v79, v79, v127                               // 000000008BD4: 0A9EFF4F
	v_pk_mul_f32 v[4:5], v[80:81], v[80:81]                    // 000000008BD8: D3B14004 1802A150
	v_pk_mul_f32 v[6:7], v[82:83], v[82:83]                    // 000000008BE0: D3B14006 1802A552
	v_pk_fma_f32 v[4:5], v[4:5], s[78:79], v[8:9]              // 000000008BE8: D3B04004 1C209D04
	v_pk_fma_f32 v[6:7], v[6:7], s[78:79], v[8:9]              // 000000008BF0: D3B04006 1C209D06
	v_pk_mul_f32 v[4:5], v[4:5], v[80:81]                      // 000000008BF8: D3B14004 1802A104
	v_pk_mul_f32 v[6:7], v[6:7], v[82:83]                      // 000000008C00: D3B14006 1802A506
	v_pk_mul_f32 v[4:5], v[4:5], s[60:61]                      // 000000008C08: D3B14004 18007904
	v_pk_mul_f32 v[6:7], v[6:7], s[60:61]                      // 000000008C10: D3B14006 18007906
	v_exp_f32_e32 v4, v4                                       // 000000008C18: 7E084104
	v_exp_f32_e32 v5, v5                                       // 000000008C1C: 7E0A4105
	v_exp_f32_e32 v6, v6                                       // 000000008C20: 7E0C4106
	v_exp_f32_e32 v7, v7                                       // 000000008C24: 7E0E4107
	v_add_f32_e64 v4, v4, 1.0                                  // 000000008C28: D1010004 0001E504
	v_add_f32_e64 v5, v5, 1.0                                  // 000000008C30: D1010005 0001E505
	v_add_f32_e64 v6, v6, 1.0                                  // 000000008C38: D1010006 0001E506
	v_add_f32_e64 v7, v7, 1.0                                  // 000000008C40: D1010007 0001E507
	v_rcp_f32_e32 v4, v4                                       // 000000008C48: 7E084504
	v_rcp_f32_e32 v5, v5                                       // 000000008C4C: 7E0A4505
	v_rcp_f32_e32 v6, v6                                       // 000000008C50: 7E0C4506
	v_rcp_f32_e32 v7, v7                                       // 000000008C54: 7E0E4507
	v_mul_f32_e32 v80, v80, v4                                 // 000000008C58: 0AA00950
	v_mul_f32_e32 v81, v81, v5                                 // 000000008C5C: 0AA20B51
	v_mul_f32_e32 v82, v82, v6                                 // 000000008C60: 0AA40D52
	v_mul_f32_e32 v83, v83, v7                                 // 000000008C64: 0AA60F53
	v_mul_f32_e32 v80, v80, v128                               // 000000008C68: 0AA10150
	v_mul_f32_e32 v81, v81, v129                               // 000000008C6C: 0AA30351
	v_mul_f32_e32 v82, v82, v130                               // 000000008C70: 0AA50552
	v_mul_f32_e32 v83, v83, v131                               // 000000008C74: 0AA70753
	v_pk_mul_f32 v[4:5], v[84:85], v[84:85]                    // 000000008C78: D3B14004 1802A954
	v_pk_mul_f32 v[6:7], v[86:87], v[86:87]                    // 000000008C80: D3B14006 1802AD56
	v_pk_fma_f32 v[4:5], v[4:5], s[78:79], v[8:9]              // 000000008C88: D3B04004 1C209D04
	v_pk_fma_f32 v[6:7], v[6:7], s[78:79], v[8:9]              // 000000008C90: D3B04006 1C209D06
	v_pk_mul_f32 v[4:5], v[4:5], v[84:85]                      // 000000008C98: D3B14004 1802A904
	v_pk_mul_f32 v[6:7], v[6:7], v[86:87]                      // 000000008CA0: D3B14006 1802AD06
	v_pk_mul_f32 v[4:5], v[4:5], s[60:61]                      // 000000008CA8: D3B14004 18007904
	v_pk_mul_f32 v[6:7], v[6:7], s[60:61]                      // 000000008CB0: D3B14006 18007906
	v_exp_f32_e32 v4, v4                                       // 000000008CB8: 7E084104
	v_exp_f32_e32 v5, v5                                       // 000000008CBC: 7E0A4105
	v_exp_f32_e32 v6, v6                                       // 000000008CC0: 7E0C4106
	v_exp_f32_e32 v7, v7                                       // 000000008CC4: 7E0E4107
	v_add_f32_e64 v4, v4, 1.0                                  // 000000008CC8: D1010004 0001E504
	v_add_f32_e64 v5, v5, 1.0                                  // 000000008CD0: D1010005 0001E505
	v_add_f32_e64 v6, v6, 1.0                                  // 000000008CD8: D1010006 0001E506
	v_add_f32_e64 v7, v7, 1.0                                  // 000000008CE0: D1010007 0001E507
	v_rcp_f32_e32 v4, v4                                       // 000000008CE8: 7E084504
	v_rcp_f32_e32 v5, v5                                       // 000000008CEC: 7E0A4505
	v_rcp_f32_e32 v6, v6                                       // 000000008CF0: 7E0C4506
	v_rcp_f32_e32 v7, v7                                       // 000000008CF4: 7E0E4507
	v_mul_f32_e32 v84, v84, v4                                 // 000000008CF8: 0AA80954
	v_mul_f32_e32 v85, v85, v5                                 // 000000008CFC: 0AAA0B55
	v_mul_f32_e32 v86, v86, v6                                 // 000000008D00: 0AAC0D56
	v_mul_f32_e32 v87, v87, v7                                 // 000000008D04: 0AAE0F57
	v_mul_f32_e32 v84, v84, v132                               // 000000008D08: 0AA90954
	v_mul_f32_e32 v85, v85, v133                               // 000000008D0C: 0AAB0B55
	v_mul_f32_e32 v86, v86, v134                               // 000000008D10: 0AAD0D56
	v_mul_f32_e32 v87, v87, v135                               // 000000008D14: 0AAF0F57
	v_pk_mul_f32 v[4:5], v[88:89], v[88:89]                    // 000000008D18: D3B14004 1802B158
	v_pk_mul_f32 v[6:7], v[90:91], v[90:91]                    // 000000008D20: D3B14006 1802B55A
	v_pk_fma_f32 v[4:5], v[4:5], s[78:79], v[8:9]              // 000000008D28: D3B04004 1C209D04
	v_pk_fma_f32 v[6:7], v[6:7], s[78:79], v[8:9]              // 000000008D30: D3B04006 1C209D06
	v_pk_mul_f32 v[4:5], v[4:5], v[88:89]                      // 000000008D38: D3B14004 1802B104
	v_pk_mul_f32 v[6:7], v[6:7], v[90:91]                      // 000000008D40: D3B14006 1802B506
	v_pk_mul_f32 v[4:5], v[4:5], s[60:61]                      // 000000008D48: D3B14004 18007904
	v_pk_mul_f32 v[6:7], v[6:7], s[60:61]                      // 000000008D50: D3B14006 18007906
	v_exp_f32_e32 v4, v4                                       // 000000008D58: 7E084104
	v_exp_f32_e32 v5, v5                                       // 000000008D5C: 7E0A4105
	v_exp_f32_e32 v6, v6                                       // 000000008D60: 7E0C4106
	v_exp_f32_e32 v7, v7                                       // 000000008D64: 7E0E4107
	v_add_f32_e64 v4, v4, 1.0                                  // 000000008D68: D1010004 0001E504
	v_add_f32_e64 v5, v5, 1.0                                  // 000000008D70: D1010005 0001E505
	v_add_f32_e64 v6, v6, 1.0                                  // 000000008D78: D1010006 0001E506
	v_add_f32_e64 v7, v7, 1.0                                  // 000000008D80: D1010007 0001E507
	v_rcp_f32_e32 v4, v4                                       // 000000008D88: 7E084504
	v_rcp_f32_e32 v5, v5                                       // 000000008D8C: 7E0A4505
	v_rcp_f32_e32 v6, v6                                       // 000000008D90: 7E0C4506
	v_rcp_f32_e32 v7, v7                                       // 000000008D94: 7E0E4507
	v_mul_f32_e32 v88, v88, v4                                 // 000000008D98: 0AB00958
	v_mul_f32_e32 v89, v89, v5                                 // 000000008D9C: 0AB20B59
	v_mul_f32_e32 v90, v90, v6                                 // 000000008DA0: 0AB40D5A
	v_mul_f32_e32 v91, v91, v7                                 // 000000008DA4: 0AB60F5B
	v_mul_f32_e32 v88, v88, v136                               // 000000008DA8: 0AB11158
	v_mul_f32_e32 v89, v89, v137                               // 000000008DAC: 0AB31359
	v_mul_f32_e32 v90, v90, v138                               // 000000008DB0: 0AB5155A
	v_mul_f32_e32 v91, v91, v139                               // 000000008DB4: 0AB7175B
	v_pk_mul_f32 v[4:5], v[92:93], v[92:93]                    // 000000008DB8: D3B14004 1802B95C
	v_pk_mul_f32 v[6:7], v[94:95], v[94:95]                    // 000000008DC0: D3B14006 1802BD5E
	v_pk_fma_f32 v[4:5], v[4:5], s[78:79], v[8:9]              // 000000008DC8: D3B04004 1C209D04
	v_pk_fma_f32 v[6:7], v[6:7], s[78:79], v[8:9]              // 000000008DD0: D3B04006 1C209D06
	v_pk_mul_f32 v[4:5], v[4:5], v[92:93]                      // 000000008DD8: D3B14004 1802B904
	v_pk_mul_f32 v[6:7], v[6:7], v[94:95]                      // 000000008DE0: D3B14006 1802BD06
	v_pk_mul_f32 v[4:5], v[4:5], s[60:61]                      // 000000008DE8: D3B14004 18007904
	v_pk_mul_f32 v[6:7], v[6:7], s[60:61]                      // 000000008DF0: D3B14006 18007906
	v_exp_f32_e32 v4, v4                                       // 000000008DF8: 7E084104
	v_exp_f32_e32 v5, v5                                       // 000000008DFC: 7E0A4105
	v_exp_f32_e32 v6, v6                                       // 000000008E00: 7E0C4106
	v_exp_f32_e32 v7, v7                                       // 000000008E04: 7E0E4107
	v_add_f32_e64 v4, v4, 1.0                                  // 000000008E08: D1010004 0001E504
	v_add_f32_e64 v5, v5, 1.0                                  // 000000008E10: D1010005 0001E505
	v_add_f32_e64 v6, v6, 1.0                                  // 000000008E18: D1010006 0001E506
	v_add_f32_e64 v7, v7, 1.0                                  // 000000008E20: D1010007 0001E507
	v_rcp_f32_e32 v4, v4                                       // 000000008E28: 7E084504
	v_rcp_f32_e32 v5, v5                                       // 000000008E2C: 7E0A4505
	v_rcp_f32_e32 v6, v6                                       // 000000008E30: 7E0C4506
	v_rcp_f32_e32 v7, v7                                       // 000000008E34: 7E0E4507
	v_mul_f32_e32 v92, v92, v4                                 // 000000008E38: 0AB8095C
	v_mul_f32_e32 v93, v93, v5                                 // 000000008E3C: 0ABA0B5D
	v_mul_f32_e32 v94, v94, v6                                 // 000000008E40: 0ABC0D5E
	v_mul_f32_e32 v95, v95, v7                                 // 000000008E44: 0ABE0F5F
	v_mul_f32_e32 v92, v92, v140                               // 000000008E48: 0AB9195C
	v_mul_f32_e32 v93, v93, v141                               // 000000008E4C: 0ABB1B5D
	v_mul_f32_e32 v94, v94, v142                               // 000000008E50: 0ABD1D5E
	v_mul_f32_e32 v95, v95, v143                               // 000000008E54: 0ABF1F5F
	v_pk_mul_f32 v[4:5], v[96:97], v[96:97]                    // 000000008E58: D3B14004 1802C160
	v_pk_mul_f32 v[6:7], v[98:99], v[98:99]                    // 000000008E60: D3B14006 1802C562
	v_pk_fma_f32 v[4:5], v[4:5], s[78:79], v[8:9]              // 000000008E68: D3B04004 1C209D04
	v_pk_fma_f32 v[6:7], v[6:7], s[78:79], v[8:9]              // 000000008E70: D3B04006 1C209D06
	v_pk_mul_f32 v[4:5], v[4:5], v[96:97]                      // 000000008E78: D3B14004 1802C104
	v_pk_mul_f32 v[6:7], v[6:7], v[98:99]                      // 000000008E80: D3B14006 1802C506
	v_pk_mul_f32 v[4:5], v[4:5], s[60:61]                      // 000000008E88: D3B14004 18007904
	v_pk_mul_f32 v[6:7], v[6:7], s[60:61]                      // 000000008E90: D3B14006 18007906
	v_exp_f32_e32 v4, v4                                       // 000000008E98: 7E084104
	v_exp_f32_e32 v5, v5                                       // 000000008E9C: 7E0A4105
	v_exp_f32_e32 v6, v6                                       // 000000008EA0: 7E0C4106
	v_exp_f32_e32 v7, v7                                       // 000000008EA4: 7E0E4107
	v_add_f32_e64 v4, v4, 1.0                                  // 000000008EA8: D1010004 0001E504
	v_add_f32_e64 v5, v5, 1.0                                  // 000000008EB0: D1010005 0001E505
	v_add_f32_e64 v6, v6, 1.0                                  // 000000008EB8: D1010006 0001E506
	v_add_f32_e64 v7, v7, 1.0                                  // 000000008EC0: D1010007 0001E507
	v_rcp_f32_e32 v4, v4                                       // 000000008EC8: 7E084504
	v_rcp_f32_e32 v5, v5                                       // 000000008ECC: 7E0A4505
	v_rcp_f32_e32 v6, v6                                       // 000000008ED0: 7E0C4506
	v_rcp_f32_e32 v7, v7                                       // 000000008ED4: 7E0E4507
	v_mul_f32_e32 v96, v96, v4                                 // 000000008ED8: 0AC00960
	v_mul_f32_e32 v97, v97, v5                                 // 000000008EDC: 0AC20B61
	v_mul_f32_e32 v98, v98, v6                                 // 000000008EE0: 0AC40D62
	v_mul_f32_e32 v99, v99, v7                                 // 000000008EE4: 0AC60F63
	v_mul_f32_e32 v96, v96, v144                               // 000000008EE8: 0AC12160
	v_mul_f32_e32 v97, v97, v145                               // 000000008EEC: 0AC32361
	v_mul_f32_e32 v98, v98, v146                               // 000000008EF0: 0AC52562
	v_mul_f32_e32 v99, v99, v147                               // 000000008EF4: 0AC72763
	v_pk_mul_f32 v[4:5], v[100:101], v[100:101]                // 000000008EF8: D3B14004 1802C964
	v_pk_mul_f32 v[6:7], v[102:103], v[102:103]                // 000000008F00: D3B14006 1802CD66
	v_pk_fma_f32 v[4:5], v[4:5], s[78:79], v[8:9]              // 000000008F08: D3B04004 1C209D04
	v_pk_fma_f32 v[6:7], v[6:7], s[78:79], v[8:9]              // 000000008F10: D3B04006 1C209D06
	v_pk_mul_f32 v[4:5], v[4:5], v[100:101]                    // 000000008F18: D3B14004 1802C904
	v_pk_mul_f32 v[6:7], v[6:7], v[102:103]                    // 000000008F20: D3B14006 1802CD06
	v_pk_mul_f32 v[4:5], v[4:5], s[60:61]                      // 000000008F28: D3B14004 18007904
	v_pk_mul_f32 v[6:7], v[6:7], s[60:61]                      // 000000008F30: D3B14006 18007906
	v_exp_f32_e32 v4, v4                                       // 000000008F38: 7E084104
	v_exp_f32_e32 v5, v5                                       // 000000008F3C: 7E0A4105
	v_exp_f32_e32 v6, v6                                       // 000000008F40: 7E0C4106
	v_exp_f32_e32 v7, v7                                       // 000000008F44: 7E0E4107
	v_add_f32_e64 v4, v4, 1.0                                  // 000000008F48: D1010004 0001E504
	v_add_f32_e64 v5, v5, 1.0                                  // 000000008F50: D1010005 0001E505
	v_add_f32_e64 v6, v6, 1.0                                  // 000000008F58: D1010006 0001E506
	v_add_f32_e64 v7, v7, 1.0                                  // 000000008F60: D1010007 0001E507
	v_rcp_f32_e32 v4, v4                                       // 000000008F68: 7E084504
	v_rcp_f32_e32 v5, v5                                       // 000000008F6C: 7E0A4505
	v_rcp_f32_e32 v6, v6                                       // 000000008F70: 7E0C4506
	v_rcp_f32_e32 v7, v7                                       // 000000008F74: 7E0E4507
	v_mul_f32_e32 v100, v100, v4                               // 000000008F78: 0AC80964
	v_mul_f32_e32 v101, v101, v5                               // 000000008F7C: 0ACA0B65
	v_mul_f32_e32 v102, v102, v6                               // 000000008F80: 0ACC0D66
	v_mul_f32_e32 v103, v103, v7                               // 000000008F84: 0ACE0F67
	v_mul_f32_e32 v100, v100, v148                             // 000000008F88: 0AC92964
	v_mul_f32_e32 v101, v101, v149                             // 000000008F8C: 0ACB2B65
	v_mul_f32_e32 v102, v102, v150                             // 000000008F90: 0ACD2D66
	v_mul_f32_e32 v103, v103, v151                             // 000000008F94: 0ACF2F67
	v_pk_mul_f32 v[4:5], v[104:105], v[104:105]                // 000000008F98: D3B14004 1802D168
	v_pk_mul_f32 v[6:7], v[106:107], v[106:107]                // 000000008FA0: D3B14006 1802D56A
	v_pk_fma_f32 v[4:5], v[4:5], s[78:79], v[8:9]              // 000000008FA8: D3B04004 1C209D04
	v_pk_fma_f32 v[6:7], v[6:7], s[78:79], v[8:9]              // 000000008FB0: D3B04006 1C209D06
	v_pk_mul_f32 v[4:5], v[4:5], v[104:105]                    // 000000008FB8: D3B14004 1802D104
	v_pk_mul_f32 v[6:7], v[6:7], v[106:107]                    // 000000008FC0: D3B14006 1802D506
	v_pk_mul_f32 v[4:5], v[4:5], s[60:61]                      // 000000008FC8: D3B14004 18007904
	v_pk_mul_f32 v[6:7], v[6:7], s[60:61]                      // 000000008FD0: D3B14006 18007906
	v_exp_f32_e32 v4, v4                                       // 000000008FD8: 7E084104
	v_exp_f32_e32 v5, v5                                       // 000000008FDC: 7E0A4105
	v_exp_f32_e32 v6, v6                                       // 000000008FE0: 7E0C4106
	v_exp_f32_e32 v7, v7                                       // 000000008FE4: 7E0E4107
	v_add_f32_e64 v4, v4, 1.0                                  // 000000008FE8: D1010004 0001E504
	v_add_f32_e64 v5, v5, 1.0                                  // 000000008FF0: D1010005 0001E505
	v_add_f32_e64 v6, v6, 1.0                                  // 000000008FF8: D1010006 0001E506
	v_add_f32_e64 v7, v7, 1.0                                  // 000000009000: D1010007 0001E507
	v_rcp_f32_e32 v4, v4                                       // 000000009008: 7E084504
	v_rcp_f32_e32 v5, v5                                       // 00000000900C: 7E0A4505
	v_rcp_f32_e32 v6, v6                                       // 000000009010: 7E0C4506
	v_rcp_f32_e32 v7, v7                                       // 000000009014: 7E0E4507
	v_mul_f32_e32 v104, v104, v4                               // 000000009018: 0AD00968
	v_mul_f32_e32 v105, v105, v5                               // 00000000901C: 0AD20B69
	v_mul_f32_e32 v106, v106, v6                               // 000000009020: 0AD40D6A
	v_mul_f32_e32 v107, v107, v7                               // 000000009024: 0AD60F6B
	v_mul_f32_e32 v104, v104, v152                             // 000000009028: 0AD13168
	v_mul_f32_e32 v105, v105, v153                             // 00000000902C: 0AD33369
	v_mul_f32_e32 v106, v106, v154                             // 000000009030: 0AD5356A
	v_mul_f32_e32 v107, v107, v155                             // 000000009034: 0AD7376B
	v_pk_mul_f32 v[4:5], v[108:109], v[108:109]                // 000000009038: D3B14004 1802D96C
	v_pk_mul_f32 v[6:7], v[110:111], v[110:111]                // 000000009040: D3B14006 1802DD6E
	v_pk_fma_f32 v[4:5], v[4:5], s[78:79], v[8:9]              // 000000009048: D3B04004 1C209D04
	v_pk_fma_f32 v[6:7], v[6:7], s[78:79], v[8:9]              // 000000009050: D3B04006 1C209D06
	v_pk_mul_f32 v[4:5], v[4:5], v[108:109]                    // 000000009058: D3B14004 1802D904
	v_pk_mul_f32 v[6:7], v[6:7], v[110:111]                    // 000000009060: D3B14006 1802DD06
	v_pk_mul_f32 v[4:5], v[4:5], s[60:61]                      // 000000009068: D3B14004 18007904
	v_pk_mul_f32 v[6:7], v[6:7], s[60:61]                      // 000000009070: D3B14006 18007906
	v_exp_f32_e32 v4, v4                                       // 000000009078: 7E084104
	v_exp_f32_e32 v5, v5                                       // 00000000907C: 7E0A4105
	v_exp_f32_e32 v6, v6                                       // 000000009080: 7E0C4106
	v_exp_f32_e32 v7, v7                                       // 000000009084: 7E0E4107
	v_add_f32_e64 v4, v4, 1.0                                  // 000000009088: D1010004 0001E504
	v_add_f32_e64 v5, v5, 1.0                                  // 000000009090: D1010005 0001E505
	v_add_f32_e64 v6, v6, 1.0                                  // 000000009098: D1010006 0001E506
	v_add_f32_e64 v7, v7, 1.0                                  // 0000000090A0: D1010007 0001E507
	v_rcp_f32_e32 v4, v4                                       // 0000000090A8: 7E084504
	v_rcp_f32_e32 v5, v5                                       // 0000000090AC: 7E0A4505
	v_rcp_f32_e32 v6, v6                                       // 0000000090B0: 7E0C4506
	v_rcp_f32_e32 v7, v7                                       // 0000000090B4: 7E0E4507
	v_mul_f32_e32 v108, v108, v4                               // 0000000090B8: 0AD8096C
	v_mul_f32_e32 v109, v109, v5                               // 0000000090BC: 0ADA0B6D
	v_mul_f32_e32 v110, v110, v6                               // 0000000090C0: 0ADC0D6E
	v_mul_f32_e32 v111, v111, v7                               // 0000000090C4: 0ADE0F6F
	v_mul_f32_e32 v108, v108, v156                             // 0000000090C8: 0AD9396C
	v_mul_f32_e32 v109, v109, v157                             // 0000000090CC: 0ADB3B6D
	v_mul_f32_e32 v110, v110, v158                             // 0000000090D0: 0ADD3D6E
	v_mul_f32_e32 v111, v111, v159                             // 0000000090D4: 0ADF3F6F
	v_pk_mul_f32 v[4:5], v[112:113], v[112:113]                // 0000000090D8: D3B14004 1802E170
	v_pk_mul_f32 v[6:7], v[114:115], v[114:115]                // 0000000090E0: D3B14006 1802E572
	v_pk_fma_f32 v[4:5], v[4:5], s[78:79], v[8:9]              // 0000000090E8: D3B04004 1C209D04
	v_pk_fma_f32 v[6:7], v[6:7], s[78:79], v[8:9]              // 0000000090F0: D3B04006 1C209D06
	v_pk_mul_f32 v[4:5], v[4:5], v[112:113]                    // 0000000090F8: D3B14004 1802E104
	v_pk_mul_f32 v[6:7], v[6:7], v[114:115]                    // 000000009100: D3B14006 1802E506
	v_pk_mul_f32 v[4:5], v[4:5], s[60:61]                      // 000000009108: D3B14004 18007904
	v_pk_mul_f32 v[6:7], v[6:7], s[60:61]                      // 000000009110: D3B14006 18007906
	v_exp_f32_e32 v4, v4                                       // 000000009118: 7E084104
	v_exp_f32_e32 v5, v5                                       // 00000000911C: 7E0A4105
	v_exp_f32_e32 v6, v6                                       // 000000009120: 7E0C4106
	v_exp_f32_e32 v7, v7                                       // 000000009124: 7E0E4107
	v_add_f32_e64 v4, v4, 1.0                                  // 000000009128: D1010004 0001E504
	v_add_f32_e64 v5, v5, 1.0                                  // 000000009130: D1010005 0001E505
	v_add_f32_e64 v6, v6, 1.0                                  // 000000009138: D1010006 0001E506
	v_add_f32_e64 v7, v7, 1.0                                  // 000000009140: D1010007 0001E507
	v_rcp_f32_e32 v4, v4                                       // 000000009148: 7E084504
	v_rcp_f32_e32 v5, v5                                       // 00000000914C: 7E0A4505
	v_rcp_f32_e32 v6, v6                                       // 000000009150: 7E0C4506
	v_rcp_f32_e32 v7, v7                                       // 000000009154: 7E0E4507
	v_mul_f32_e32 v112, v112, v4                               // 000000009158: 0AE00970
	v_mul_f32_e32 v113, v113, v5                               // 00000000915C: 0AE20B71
	v_mul_f32_e32 v114, v114, v6                               // 000000009160: 0AE40D72
	v_mul_f32_e32 v115, v115, v7                               // 000000009164: 0AE60F73
	v_mul_f32_e32 v112, v112, v160                             // 000000009168: 0AE14170
	v_mul_f32_e32 v113, v113, v161                             // 00000000916C: 0AE34371
	v_mul_f32_e32 v114, v114, v162                             // 000000009170: 0AE54572
	v_mul_f32_e32 v115, v115, v163                             // 000000009174: 0AE74773
	s_branch label_1B62                                        // 000000009178: BF820180

000000000000917c <label_19E2>:
	v_mul_f32_e64 v4, -v68, s6                                 // 00000000917C: D1050004 20000D44
	v_mul_f32_e64 v5, -v69, s6                                 // 000000009184: D1050005 20000D45
	v_mul_f32_e64 v6, -v70, s6                                 // 00000000918C: D1050006 20000D46
	v_mul_f32_e64 v7, -v71, s6                                 // 000000009194: D1050007 20000D47
	v_exp_f32_e32 v4, v4                                       // 00000000919C: 7E084104
	v_exp_f32_e32 v5, v5                                       // 0000000091A0: 7E0A4105
	v_exp_f32_e32 v6, v6                                       // 0000000091A4: 7E0C4106
	v_exp_f32_e32 v7, v7                                       // 0000000091A8: 7E0E4107
	v_add_f32_e64 v4, v4, 1.0                                  // 0000000091AC: D1010004 0001E504
	v_add_f32_e64 v5, v5, 1.0                                  // 0000000091B4: D1010005 0001E505
	v_add_f32_e64 v6, v6, 1.0                                  // 0000000091BC: D1010006 0001E506
	v_add_f32_e64 v7, v7, 1.0                                  // 0000000091C4: D1010007 0001E507
	v_rcp_f32_e32 v4, v4                                       // 0000000091CC: 7E084504
	v_rcp_f32_e32 v5, v5                                       // 0000000091D0: 7E0A4505
	v_rcp_f32_e32 v6, v6                                       // 0000000091D4: 7E0C4506
	v_rcp_f32_e32 v7, v7                                       // 0000000091D8: 7E0E4507
	v_mul_f32_e32 v68, v68, v4                                 // 0000000091DC: 0A880944
	v_mul_f32_e32 v69, v69, v5                                 // 0000000091E0: 0A8A0B45
	v_mul_f32_e32 v70, v70, v6                                 // 0000000091E4: 0A8C0D46
	v_mul_f32_e32 v71, v71, v7                                 // 0000000091E8: 0A8E0F47
	v_mul_f32_e32 v68, v68, v116                               // 0000000091EC: 0A88E944
	v_mul_f32_e32 v69, v69, v117                               // 0000000091F0: 0A8AEB45
	v_mul_f32_e32 v70, v70, v118                               // 0000000091F4: 0A8CED46
	v_mul_f32_e32 v71, v71, v119                               // 0000000091F8: 0A8EEF47
	v_mul_f32_e64 v4, -v72, s6                                 // 0000000091FC: D1050004 20000D48
	v_mul_f32_e64 v5, -v73, s6                                 // 000000009204: D1050005 20000D49
	v_mul_f32_e64 v6, -v74, s6                                 // 00000000920C: D1050006 20000D4A
	v_mul_f32_e64 v7, -v75, s6                                 // 000000009214: D1050007 20000D4B
	v_exp_f32_e32 v4, v4                                       // 00000000921C: 7E084104
	v_exp_f32_e32 v5, v5                                       // 000000009220: 7E0A4105
	v_exp_f32_e32 v6, v6                                       // 000000009224: 7E0C4106
	v_exp_f32_e32 v7, v7                                       // 000000009228: 7E0E4107
	v_add_f32_e64 v4, v4, 1.0                                  // 00000000922C: D1010004 0001E504
	v_add_f32_e64 v5, v5, 1.0                                  // 000000009234: D1010005 0001E505
	v_add_f32_e64 v6, v6, 1.0                                  // 00000000923C: D1010006 0001E506
	v_add_f32_e64 v7, v7, 1.0                                  // 000000009244: D1010007 0001E507
	v_rcp_f32_e32 v4, v4                                       // 00000000924C: 7E084504
	v_rcp_f32_e32 v5, v5                                       // 000000009250: 7E0A4505
	v_rcp_f32_e32 v6, v6                                       // 000000009254: 7E0C4506
	v_rcp_f32_e32 v7, v7                                       // 000000009258: 7E0E4507
	v_mul_f32_e32 v72, v72, v4                                 // 00000000925C: 0A900948
	v_mul_f32_e32 v73, v73, v5                                 // 000000009260: 0A920B49
	v_mul_f32_e32 v74, v74, v6                                 // 000000009264: 0A940D4A
	v_mul_f32_e32 v75, v75, v7                                 // 000000009268: 0A960F4B
	v_mul_f32_e32 v72, v72, v120                               // 00000000926C: 0A90F148
	v_mul_f32_e32 v73, v73, v121                               // 000000009270: 0A92F349
	v_mul_f32_e32 v74, v74, v122                               // 000000009274: 0A94F54A
	v_mul_f32_e32 v75, v75, v123                               // 000000009278: 0A96F74B
	v_mul_f32_e64 v4, -v76, s6                                 // 00000000927C: D1050004 20000D4C
	v_mul_f32_e64 v5, -v77, s6                                 // 000000009284: D1050005 20000D4D
	v_mul_f32_e64 v6, -v78, s6                                 // 00000000928C: D1050006 20000D4E
	v_mul_f32_e64 v7, -v79, s6                                 // 000000009294: D1050007 20000D4F
	v_exp_f32_e32 v4, v4                                       // 00000000929C: 7E084104
	v_exp_f32_e32 v5, v5                                       // 0000000092A0: 7E0A4105
	v_exp_f32_e32 v6, v6                                       // 0000000092A4: 7E0C4106
	v_exp_f32_e32 v7, v7                                       // 0000000092A8: 7E0E4107
	v_add_f32_e64 v4, v4, 1.0                                  // 0000000092AC: D1010004 0001E504
	v_add_f32_e64 v5, v5, 1.0                                  // 0000000092B4: D1010005 0001E505
	v_add_f32_e64 v6, v6, 1.0                                  // 0000000092BC: D1010006 0001E506
	v_add_f32_e64 v7, v7, 1.0                                  // 0000000092C4: D1010007 0001E507
	v_rcp_f32_e32 v4, v4                                       // 0000000092CC: 7E084504
	v_rcp_f32_e32 v5, v5                                       // 0000000092D0: 7E0A4505
	v_rcp_f32_e32 v6, v6                                       // 0000000092D4: 7E0C4506
	v_rcp_f32_e32 v7, v7                                       // 0000000092D8: 7E0E4507
	v_mul_f32_e32 v76, v76, v4                                 // 0000000092DC: 0A98094C
	v_mul_f32_e32 v77, v77, v5                                 // 0000000092E0: 0A9A0B4D
	v_mul_f32_e32 v78, v78, v6                                 // 0000000092E4: 0A9C0D4E
	v_mul_f32_e32 v79, v79, v7                                 // 0000000092E8: 0A9E0F4F
	v_mul_f32_e32 v76, v76, v124                               // 0000000092EC: 0A98F94C
	v_mul_f32_e32 v77, v77, v125                               // 0000000092F0: 0A9AFB4D
	v_mul_f32_e32 v78, v78, v126                               // 0000000092F4: 0A9CFD4E
	v_mul_f32_e32 v79, v79, v127                               // 0000000092F8: 0A9EFF4F
	v_mul_f32_e64 v4, -v80, s6                                 // 0000000092FC: D1050004 20000D50
	v_mul_f32_e64 v5, -v81, s6                                 // 000000009304: D1050005 20000D51
	v_mul_f32_e64 v6, -v82, s6                                 // 00000000930C: D1050006 20000D52
	v_mul_f32_e64 v7, -v83, s6                                 // 000000009314: D1050007 20000D53
	v_exp_f32_e32 v4, v4                                       // 00000000931C: 7E084104
	v_exp_f32_e32 v5, v5                                       // 000000009320: 7E0A4105
	v_exp_f32_e32 v6, v6                                       // 000000009324: 7E0C4106
	v_exp_f32_e32 v7, v7                                       // 000000009328: 7E0E4107
	v_add_f32_e64 v4, v4, 1.0                                  // 00000000932C: D1010004 0001E504
	v_add_f32_e64 v5, v5, 1.0                                  // 000000009334: D1010005 0001E505
	v_add_f32_e64 v6, v6, 1.0                                  // 00000000933C: D1010006 0001E506
	v_add_f32_e64 v7, v7, 1.0                                  // 000000009344: D1010007 0001E507
	v_rcp_f32_e32 v4, v4                                       // 00000000934C: 7E084504
	v_rcp_f32_e32 v5, v5                                       // 000000009350: 7E0A4505
	v_rcp_f32_e32 v6, v6                                       // 000000009354: 7E0C4506
	v_rcp_f32_e32 v7, v7                                       // 000000009358: 7E0E4507
	v_mul_f32_e32 v80, v80, v4                                 // 00000000935C: 0AA00950
	v_mul_f32_e32 v81, v81, v5                                 // 000000009360: 0AA20B51
	v_mul_f32_e32 v82, v82, v6                                 // 000000009364: 0AA40D52
	v_mul_f32_e32 v83, v83, v7                                 // 000000009368: 0AA60F53
	v_mul_f32_e32 v80, v80, v128                               // 00000000936C: 0AA10150
	v_mul_f32_e32 v81, v81, v129                               // 000000009370: 0AA30351
	v_mul_f32_e32 v82, v82, v130                               // 000000009374: 0AA50552
	v_mul_f32_e32 v83, v83, v131                               // 000000009378: 0AA70753
	v_mul_f32_e64 v4, -v84, s6                                 // 00000000937C: D1050004 20000D54
	v_mul_f32_e64 v5, -v85, s6                                 // 000000009384: D1050005 20000D55
	v_mul_f32_e64 v6, -v86, s6                                 // 00000000938C: D1050006 20000D56
	v_mul_f32_e64 v7, -v87, s6                                 // 000000009394: D1050007 20000D57
	v_exp_f32_e32 v4, v4                                       // 00000000939C: 7E084104
	v_exp_f32_e32 v5, v5                                       // 0000000093A0: 7E0A4105
	v_exp_f32_e32 v6, v6                                       // 0000000093A4: 7E0C4106
	v_exp_f32_e32 v7, v7                                       // 0000000093A8: 7E0E4107
	v_add_f32_e64 v4, v4, 1.0                                  // 0000000093AC: D1010004 0001E504
	v_add_f32_e64 v5, v5, 1.0                                  // 0000000093B4: D1010005 0001E505
	v_add_f32_e64 v6, v6, 1.0                                  // 0000000093BC: D1010006 0001E506
	v_add_f32_e64 v7, v7, 1.0                                  // 0000000093C4: D1010007 0001E507
	v_rcp_f32_e32 v4, v4                                       // 0000000093CC: 7E084504
	v_rcp_f32_e32 v5, v5                                       // 0000000093D0: 7E0A4505
	v_rcp_f32_e32 v6, v6                                       // 0000000093D4: 7E0C4506
	v_rcp_f32_e32 v7, v7                                       // 0000000093D8: 7E0E4507
	v_mul_f32_e32 v84, v84, v4                                 // 0000000093DC: 0AA80954
	v_mul_f32_e32 v85, v85, v5                                 // 0000000093E0: 0AAA0B55
	v_mul_f32_e32 v86, v86, v6                                 // 0000000093E4: 0AAC0D56
	v_mul_f32_e32 v87, v87, v7                                 // 0000000093E8: 0AAE0F57
	v_mul_f32_e32 v84, v84, v132                               // 0000000093EC: 0AA90954
	v_mul_f32_e32 v85, v85, v133                               // 0000000093F0: 0AAB0B55
	v_mul_f32_e32 v86, v86, v134                               // 0000000093F4: 0AAD0D56
	v_mul_f32_e32 v87, v87, v135                               // 0000000093F8: 0AAF0F57
	v_mul_f32_e64 v4, -v88, s6                                 // 0000000093FC: D1050004 20000D58
	v_mul_f32_e64 v5, -v89, s6                                 // 000000009404: D1050005 20000D59
	v_mul_f32_e64 v6, -v90, s6                                 // 00000000940C: D1050006 20000D5A
	v_mul_f32_e64 v7, -v91, s6                                 // 000000009414: D1050007 20000D5B
	v_exp_f32_e32 v4, v4                                       // 00000000941C: 7E084104
	v_exp_f32_e32 v5, v5                                       // 000000009420: 7E0A4105
	v_exp_f32_e32 v6, v6                                       // 000000009424: 7E0C4106
	v_exp_f32_e32 v7, v7                                       // 000000009428: 7E0E4107
	v_add_f32_e64 v4, v4, 1.0                                  // 00000000942C: D1010004 0001E504
	v_add_f32_e64 v5, v5, 1.0                                  // 000000009434: D1010005 0001E505
	v_add_f32_e64 v6, v6, 1.0                                  // 00000000943C: D1010006 0001E506
	v_add_f32_e64 v7, v7, 1.0                                  // 000000009444: D1010007 0001E507
	v_rcp_f32_e32 v4, v4                                       // 00000000944C: 7E084504
	v_rcp_f32_e32 v5, v5                                       // 000000009450: 7E0A4505
	v_rcp_f32_e32 v6, v6                                       // 000000009454: 7E0C4506
	v_rcp_f32_e32 v7, v7                                       // 000000009458: 7E0E4507
	v_mul_f32_e32 v88, v88, v4                                 // 00000000945C: 0AB00958
	v_mul_f32_e32 v89, v89, v5                                 // 000000009460: 0AB20B59
	v_mul_f32_e32 v90, v90, v6                                 // 000000009464: 0AB40D5A
	v_mul_f32_e32 v91, v91, v7                                 // 000000009468: 0AB60F5B
	v_mul_f32_e32 v88, v88, v136                               // 00000000946C: 0AB11158
	v_mul_f32_e32 v89, v89, v137                               // 000000009470: 0AB31359
	v_mul_f32_e32 v90, v90, v138                               // 000000009474: 0AB5155A
	v_mul_f32_e32 v91, v91, v139                               // 000000009478: 0AB7175B
	v_mul_f32_e64 v4, -v92, s6                                 // 00000000947C: D1050004 20000D5C
	v_mul_f32_e64 v5, -v93, s6                                 // 000000009484: D1050005 20000D5D
	v_mul_f32_e64 v6, -v94, s6                                 // 00000000948C: D1050006 20000D5E
	v_mul_f32_e64 v7, -v95, s6                                 // 000000009494: D1050007 20000D5F
	v_exp_f32_e32 v4, v4                                       // 00000000949C: 7E084104
	v_exp_f32_e32 v5, v5                                       // 0000000094A0: 7E0A4105
	v_exp_f32_e32 v6, v6                                       // 0000000094A4: 7E0C4106
	v_exp_f32_e32 v7, v7                                       // 0000000094A8: 7E0E4107
	v_add_f32_e64 v4, v4, 1.0                                  // 0000000094AC: D1010004 0001E504
	v_add_f32_e64 v5, v5, 1.0                                  // 0000000094B4: D1010005 0001E505
	v_add_f32_e64 v6, v6, 1.0                                  // 0000000094BC: D1010006 0001E506
	v_add_f32_e64 v7, v7, 1.0                                  // 0000000094C4: D1010007 0001E507
	v_rcp_f32_e32 v4, v4                                       // 0000000094CC: 7E084504
	v_rcp_f32_e32 v5, v5                                       // 0000000094D0: 7E0A4505
	v_rcp_f32_e32 v6, v6                                       // 0000000094D4: 7E0C4506
	v_rcp_f32_e32 v7, v7                                       // 0000000094D8: 7E0E4507
	v_mul_f32_e32 v92, v92, v4                                 // 0000000094DC: 0AB8095C
	v_mul_f32_e32 v93, v93, v5                                 // 0000000094E0: 0ABA0B5D
	v_mul_f32_e32 v94, v94, v6                                 // 0000000094E4: 0ABC0D5E
	v_mul_f32_e32 v95, v95, v7                                 // 0000000094E8: 0ABE0F5F
	v_mul_f32_e32 v92, v92, v140                               // 0000000094EC: 0AB9195C
	v_mul_f32_e32 v93, v93, v141                               // 0000000094F0: 0ABB1B5D
	v_mul_f32_e32 v94, v94, v142                               // 0000000094F4: 0ABD1D5E
	v_mul_f32_e32 v95, v95, v143                               // 0000000094F8: 0ABF1F5F
	v_mul_f32_e64 v4, -v96, s6                                 // 0000000094FC: D1050004 20000D60
	v_mul_f32_e64 v5, -v97, s6                                 // 000000009504: D1050005 20000D61
	v_mul_f32_e64 v6, -v98, s6                                 // 00000000950C: D1050006 20000D62
	v_mul_f32_e64 v7, -v99, s6                                 // 000000009514: D1050007 20000D63
	v_exp_f32_e32 v4, v4                                       // 00000000951C: 7E084104
	v_exp_f32_e32 v5, v5                                       // 000000009520: 7E0A4105
	v_exp_f32_e32 v6, v6                                       // 000000009524: 7E0C4106
	v_exp_f32_e32 v7, v7                                       // 000000009528: 7E0E4107
	v_add_f32_e64 v4, v4, 1.0                                  // 00000000952C: D1010004 0001E504
	v_add_f32_e64 v5, v5, 1.0                                  // 000000009534: D1010005 0001E505
	v_add_f32_e64 v6, v6, 1.0                                  // 00000000953C: D1010006 0001E506
	v_add_f32_e64 v7, v7, 1.0                                  // 000000009544: D1010007 0001E507
	v_rcp_f32_e32 v4, v4                                       // 00000000954C: 7E084504
	v_rcp_f32_e32 v5, v5                                       // 000000009550: 7E0A4505
	v_rcp_f32_e32 v6, v6                                       // 000000009554: 7E0C4506
	v_rcp_f32_e32 v7, v7                                       // 000000009558: 7E0E4507
	v_mul_f32_e32 v96, v96, v4                                 // 00000000955C: 0AC00960
	v_mul_f32_e32 v97, v97, v5                                 // 000000009560: 0AC20B61
	v_mul_f32_e32 v98, v98, v6                                 // 000000009564: 0AC40D62
	v_mul_f32_e32 v99, v99, v7                                 // 000000009568: 0AC60F63
	v_mul_f32_e32 v96, v96, v144                               // 00000000956C: 0AC12160
	v_mul_f32_e32 v97, v97, v145                               // 000000009570: 0AC32361
	v_mul_f32_e32 v98, v98, v146                               // 000000009574: 0AC52562
	v_mul_f32_e32 v99, v99, v147                               // 000000009578: 0AC72763
	v_mul_f32_e64 v4, -v100, s6                                // 00000000957C: D1050004 20000D64
	v_mul_f32_e64 v5, -v101, s6                                // 000000009584: D1050005 20000D65
	v_mul_f32_e64 v6, -v102, s6                                // 00000000958C: D1050006 20000D66
	v_mul_f32_e64 v7, -v103, s6                                // 000000009594: D1050007 20000D67
	v_exp_f32_e32 v4, v4                                       // 00000000959C: 7E084104
	v_exp_f32_e32 v5, v5                                       // 0000000095A0: 7E0A4105
	v_exp_f32_e32 v6, v6                                       // 0000000095A4: 7E0C4106
	v_exp_f32_e32 v7, v7                                       // 0000000095A8: 7E0E4107
	v_add_f32_e64 v4, v4, 1.0                                  // 0000000095AC: D1010004 0001E504
	v_add_f32_e64 v5, v5, 1.0                                  // 0000000095B4: D1010005 0001E505
	v_add_f32_e64 v6, v6, 1.0                                  // 0000000095BC: D1010006 0001E506
	v_add_f32_e64 v7, v7, 1.0                                  // 0000000095C4: D1010007 0001E507
	v_rcp_f32_e32 v4, v4                                       // 0000000095CC: 7E084504
	v_rcp_f32_e32 v5, v5                                       // 0000000095D0: 7E0A4505
	v_rcp_f32_e32 v6, v6                                       // 0000000095D4: 7E0C4506
	v_rcp_f32_e32 v7, v7                                       // 0000000095D8: 7E0E4507
	v_mul_f32_e32 v100, v100, v4                               // 0000000095DC: 0AC80964
	v_mul_f32_e32 v101, v101, v5                               // 0000000095E0: 0ACA0B65
	v_mul_f32_e32 v102, v102, v6                               // 0000000095E4: 0ACC0D66
	v_mul_f32_e32 v103, v103, v7                               // 0000000095E8: 0ACE0F67
	v_mul_f32_e32 v100, v100, v148                             // 0000000095EC: 0AC92964
	v_mul_f32_e32 v101, v101, v149                             // 0000000095F0: 0ACB2B65
	v_mul_f32_e32 v102, v102, v150                             // 0000000095F4: 0ACD2D66
	v_mul_f32_e32 v103, v103, v151                             // 0000000095F8: 0ACF2F67
	v_mul_f32_e64 v4, -v104, s6                                // 0000000095FC: D1050004 20000D68
	v_mul_f32_e64 v5, -v105, s6                                // 000000009604: D1050005 20000D69
	v_mul_f32_e64 v6, -v106, s6                                // 00000000960C: D1050006 20000D6A
	v_mul_f32_e64 v7, -v107, s6                                // 000000009614: D1050007 20000D6B
	v_exp_f32_e32 v4, v4                                       // 00000000961C: 7E084104
	v_exp_f32_e32 v5, v5                                       // 000000009620: 7E0A4105
	v_exp_f32_e32 v6, v6                                       // 000000009624: 7E0C4106
	v_exp_f32_e32 v7, v7                                       // 000000009628: 7E0E4107
	v_add_f32_e64 v4, v4, 1.0                                  // 00000000962C: D1010004 0001E504
	v_add_f32_e64 v5, v5, 1.0                                  // 000000009634: D1010005 0001E505
	v_add_f32_e64 v6, v6, 1.0                                  // 00000000963C: D1010006 0001E506
	v_add_f32_e64 v7, v7, 1.0                                  // 000000009644: D1010007 0001E507
	v_rcp_f32_e32 v4, v4                                       // 00000000964C: 7E084504
	v_rcp_f32_e32 v5, v5                                       // 000000009650: 7E0A4505
	v_rcp_f32_e32 v6, v6                                       // 000000009654: 7E0C4506
	v_rcp_f32_e32 v7, v7                                       // 000000009658: 7E0E4507
	v_mul_f32_e32 v104, v104, v4                               // 00000000965C: 0AD00968
	v_mul_f32_e32 v105, v105, v5                               // 000000009660: 0AD20B69
	v_mul_f32_e32 v106, v106, v6                               // 000000009664: 0AD40D6A
	v_mul_f32_e32 v107, v107, v7                               // 000000009668: 0AD60F6B
	v_mul_f32_e32 v104, v104, v152                             // 00000000966C: 0AD13168
	v_mul_f32_e32 v105, v105, v153                             // 000000009670: 0AD33369
	v_mul_f32_e32 v106, v106, v154                             // 000000009674: 0AD5356A
	v_mul_f32_e32 v107, v107, v155                             // 000000009678: 0AD7376B
	v_mul_f32_e64 v4, -v108, s6                                // 00000000967C: D1050004 20000D6C
	v_mul_f32_e64 v5, -v109, s6                                // 000000009684: D1050005 20000D6D
	v_mul_f32_e64 v6, -v110, s6                                // 00000000968C: D1050006 20000D6E
	v_mul_f32_e64 v7, -v111, s6                                // 000000009694: D1050007 20000D6F
	v_exp_f32_e32 v4, v4                                       // 00000000969C: 7E084104
	v_exp_f32_e32 v5, v5                                       // 0000000096A0: 7E0A4105
	v_exp_f32_e32 v6, v6                                       // 0000000096A4: 7E0C4106
	v_exp_f32_e32 v7, v7                                       // 0000000096A8: 7E0E4107
	v_add_f32_e64 v4, v4, 1.0                                  // 0000000096AC: D1010004 0001E504
	v_add_f32_e64 v5, v5, 1.0                                  // 0000000096B4: D1010005 0001E505
	v_add_f32_e64 v6, v6, 1.0                                  // 0000000096BC: D1010006 0001E506
	v_add_f32_e64 v7, v7, 1.0                                  // 0000000096C4: D1010007 0001E507
	v_rcp_f32_e32 v4, v4                                       // 0000000096CC: 7E084504
	v_rcp_f32_e32 v5, v5                                       // 0000000096D0: 7E0A4505
	v_rcp_f32_e32 v6, v6                                       // 0000000096D4: 7E0C4506
	v_rcp_f32_e32 v7, v7                                       // 0000000096D8: 7E0E4507
	v_mul_f32_e32 v108, v108, v4                               // 0000000096DC: 0AD8096C
	v_mul_f32_e32 v109, v109, v5                               // 0000000096E0: 0ADA0B6D
	v_mul_f32_e32 v110, v110, v6                               // 0000000096E4: 0ADC0D6E
	v_mul_f32_e32 v111, v111, v7                               // 0000000096E8: 0ADE0F6F
	v_mul_f32_e32 v108, v108, v156                             // 0000000096EC: 0AD9396C
	v_mul_f32_e32 v109, v109, v157                             // 0000000096F0: 0ADB3B6D
	v_mul_f32_e32 v110, v110, v158                             // 0000000096F4: 0ADD3D6E
	v_mul_f32_e32 v111, v111, v159                             // 0000000096F8: 0ADF3F6F
	v_mul_f32_e64 v4, -v112, s6                                // 0000000096FC: D1050004 20000D70
	v_mul_f32_e64 v5, -v113, s6                                // 000000009704: D1050005 20000D71
	v_mul_f32_e64 v6, -v114, s6                                // 00000000970C: D1050006 20000D72
	v_mul_f32_e64 v7, -v115, s6                                // 000000009714: D1050007 20000D73
	v_exp_f32_e32 v4, v4                                       // 00000000971C: 7E084104
	v_exp_f32_e32 v5, v5                                       // 000000009720: 7E0A4105
	v_exp_f32_e32 v6, v6                                       // 000000009724: 7E0C4106
	v_exp_f32_e32 v7, v7                                       // 000000009728: 7E0E4107
	v_add_f32_e64 v4, v4, 1.0                                  // 00000000972C: D1010004 0001E504
	v_add_f32_e64 v5, v5, 1.0                                  // 000000009734: D1010005 0001E505
	v_add_f32_e64 v6, v6, 1.0                                  // 00000000973C: D1010006 0001E506
	v_add_f32_e64 v7, v7, 1.0                                  // 000000009744: D1010007 0001E507
	v_rcp_f32_e32 v4, v4                                       // 00000000974C: 7E084504
	v_rcp_f32_e32 v5, v5                                       // 000000009750: 7E0A4505
	v_rcp_f32_e32 v6, v6                                       // 000000009754: 7E0C4506
	v_rcp_f32_e32 v7, v7                                       // 000000009758: 7E0E4507
	v_mul_f32_e32 v112, v112, v4                               // 00000000975C: 0AE00970
	v_mul_f32_e32 v113, v113, v5                               // 000000009760: 0AE20B71
	v_mul_f32_e32 v114, v114, v6                               // 000000009764: 0AE40D72
	v_mul_f32_e32 v115, v115, v7                               // 000000009768: 0AE60F73
	v_mul_f32_e32 v112, v112, v160                             // 00000000976C: 0AE14170
	v_mul_f32_e32 v113, v113, v161                             // 000000009770: 0AE34371
	v_mul_f32_e32 v114, v114, v162                             // 000000009774: 0AE54572
	v_mul_f32_e32 v115, v115, v163                             // 000000009778: 0AE74773

000000000000977c <label_1B62>:
	v_cmp_u_f32_e64 s[46:47], v68, v68                         // 00000000977C: D048002E 00028944
	v_add3_u32 v16, v68, v19, 1                                // 000000009784: D1FF0010 02062744
	v_cndmask_b32_e64 v4, v16, v18, s[46:47]                   // 00000000978C: D1000004 00BA2510
	v_cmp_u_f32_e64 s[46:47], v69, v69                         // 000000009794: D048002E 00028B45
	v_add3_u32 v16, v69, v19, 1                                // 00000000979C: D1FF0010 02062745
	v_cndmask_b32_e64 v5, v16, v18, s[46:47]                   // 0000000097A4: D1000005 00BA2510
	v_perm_b32 v68, v5, v4, s52                                // 0000000097AC: D1ED0044 00D20905
	v_cmp_u_f32_e64 s[46:47], v70, v70                         // 0000000097B4: D048002E 00028D46
	v_add3_u32 v16, v70, v19, 1                                // 0000000097BC: D1FF0010 02062746
	v_cndmask_b32_e64 v4, v16, v18, s[46:47]                   // 0000000097C4: D1000004 00BA2510
	v_cmp_u_f32_e64 s[46:47], v71, v71                         // 0000000097CC: D048002E 00028F47
	v_add3_u32 v16, v71, v19, 1                                // 0000000097D4: D1FF0010 02062747
	v_cndmask_b32_e64 v5, v16, v18, s[46:47]                   // 0000000097DC: D1000005 00BA2510
	v_perm_b32 v69, v5, v4, s52                                // 0000000097E4: D1ED0045 00D20905
	v_cmp_u_f32_e64 s[46:47], v72, v72                         // 0000000097EC: D048002E 00029148
	v_add3_u32 v16, v72, v19, 1                                // 0000000097F4: D1FF0010 02062748
	v_cndmask_b32_e64 v4, v16, v18, s[46:47]                   // 0000000097FC: D1000004 00BA2510
	v_cmp_u_f32_e64 s[46:47], v73, v73                         // 000000009804: D048002E 00029349
	v_add3_u32 v16, v73, v19, 1                                // 00000000980C: D1FF0010 02062749
	v_cndmask_b32_e64 v5, v16, v18, s[46:47]                   // 000000009814: D1000005 00BA2510
	v_perm_b32 v70, v5, v4, s52                                // 00000000981C: D1ED0046 00D20905
	v_cmp_u_f32_e64 s[46:47], v74, v74                         // 000000009824: D048002E 0002954A
	v_add3_u32 v16, v74, v19, 1                                // 00000000982C: D1FF0010 0206274A
	v_cndmask_b32_e64 v4, v16, v18, s[46:47]                   // 000000009834: D1000004 00BA2510
	v_cmp_u_f32_e64 s[46:47], v75, v75                         // 00000000983C: D048002E 0002974B
	v_add3_u32 v16, v75, v19, 1                                // 000000009844: D1FF0010 0206274B
	v_cndmask_b32_e64 v5, v16, v18, s[46:47]                   // 00000000984C: D1000005 00BA2510
	v_perm_b32 v71, v5, v4, s52                                // 000000009854: D1ED0047 00D20905
	v_cmp_u_f32_e64 s[46:47], v76, v76                         // 00000000985C: D048002E 0002994C
	v_add3_u32 v16, v76, v19, 1                                // 000000009864: D1FF0010 0206274C
	v_cndmask_b32_e64 v4, v16, v18, s[46:47]                   // 00000000986C: D1000004 00BA2510
	v_cmp_u_f32_e64 s[46:47], v77, v77                         // 000000009874: D048002E 00029B4D
	v_add3_u32 v16, v77, v19, 1                                // 00000000987C: D1FF0010 0206274D
	v_cndmask_b32_e64 v5, v16, v18, s[46:47]                   // 000000009884: D1000005 00BA2510
	v_perm_b32 v72, v5, v4, s52                                // 00000000988C: D1ED0048 00D20905
	v_cmp_u_f32_e64 s[46:47], v78, v78                         // 000000009894: D048002E 00029D4E
	v_add3_u32 v16, v78, v19, 1                                // 00000000989C: D1FF0010 0206274E
	v_cndmask_b32_e64 v4, v16, v18, s[46:47]                   // 0000000098A4: D1000004 00BA2510
	v_cmp_u_f32_e64 s[46:47], v79, v79                         // 0000000098AC: D048002E 00029F4F
	v_add3_u32 v16, v79, v19, 1                                // 0000000098B4: D1FF0010 0206274F
	v_cndmask_b32_e64 v5, v16, v18, s[46:47]                   // 0000000098BC: D1000005 00BA2510
	v_perm_b32 v73, v5, v4, s52                                // 0000000098C4: D1ED0049 00D20905
	v_cmp_u_f32_e64 s[46:47], v80, v80                         // 0000000098CC: D048002E 0002A150
	v_add3_u32 v16, v80, v19, 1                                // 0000000098D4: D1FF0010 02062750
	v_cndmask_b32_e64 v4, v16, v18, s[46:47]                   // 0000000098DC: D1000004 00BA2510
	v_cmp_u_f32_e64 s[46:47], v81, v81                         // 0000000098E4: D048002E 0002A351
	v_add3_u32 v16, v81, v19, 1                                // 0000000098EC: D1FF0010 02062751
	v_cndmask_b32_e64 v5, v16, v18, s[46:47]                   // 0000000098F4: D1000005 00BA2510
	v_perm_b32 v74, v5, v4, s52                                // 0000000098FC: D1ED004A 00D20905
	v_cmp_u_f32_e64 s[46:47], v82, v82                         // 000000009904: D048002E 0002A552
	v_add3_u32 v16, v82, v19, 1                                // 00000000990C: D1FF0010 02062752
	v_cndmask_b32_e64 v4, v16, v18, s[46:47]                   // 000000009914: D1000004 00BA2510
	v_cmp_u_f32_e64 s[46:47], v83, v83                         // 00000000991C: D048002E 0002A753
	v_add3_u32 v16, v83, v19, 1                                // 000000009924: D1FF0010 02062753
	v_cndmask_b32_e64 v5, v16, v18, s[46:47]                   // 00000000992C: D1000005 00BA2510
	v_perm_b32 v75, v5, v4, s52                                // 000000009934: D1ED004B 00D20905
	v_cmp_u_f32_e64 s[46:47], v84, v84                         // 00000000993C: D048002E 0002A954
	v_add3_u32 v16, v84, v19, 1                                // 000000009944: D1FF0010 02062754
	v_cndmask_b32_e64 v4, v16, v18, s[46:47]                   // 00000000994C: D1000004 00BA2510
	v_cmp_u_f32_e64 s[46:47], v85, v85                         // 000000009954: D048002E 0002AB55
	v_add3_u32 v16, v85, v19, 1                                // 00000000995C: D1FF0010 02062755
	v_cndmask_b32_e64 v5, v16, v18, s[46:47]                   // 000000009964: D1000005 00BA2510
	v_perm_b32 v76, v5, v4, s52                                // 00000000996C: D1ED004C 00D20905
	v_cmp_u_f32_e64 s[46:47], v86, v86                         // 000000009974: D048002E 0002AD56
	v_add3_u32 v16, v86, v19, 1                                // 00000000997C: D1FF0010 02062756
	v_cndmask_b32_e64 v4, v16, v18, s[46:47]                   // 000000009984: D1000004 00BA2510
	v_cmp_u_f32_e64 s[46:47], v87, v87                         // 00000000998C: D048002E 0002AF57
	v_add3_u32 v16, v87, v19, 1                                // 000000009994: D1FF0010 02062757
	v_cndmask_b32_e64 v5, v16, v18, s[46:47]                   // 00000000999C: D1000005 00BA2510
	v_perm_b32 v77, v5, v4, s52                                // 0000000099A4: D1ED004D 00D20905
	v_cmp_u_f32_e64 s[46:47], v88, v88                         // 0000000099AC: D048002E 0002B158
	v_add3_u32 v16, v88, v19, 1                                // 0000000099B4: D1FF0010 02062758
	v_cndmask_b32_e64 v4, v16, v18, s[46:47]                   // 0000000099BC: D1000004 00BA2510
	v_cmp_u_f32_e64 s[46:47], v89, v89                         // 0000000099C4: D048002E 0002B359
	v_add3_u32 v16, v89, v19, 1                                // 0000000099CC: D1FF0010 02062759
	v_cndmask_b32_e64 v5, v16, v18, s[46:47]                   // 0000000099D4: D1000005 00BA2510
	v_perm_b32 v78, v5, v4, s52                                // 0000000099DC: D1ED004E 00D20905
	v_cmp_u_f32_e64 s[46:47], v90, v90                         // 0000000099E4: D048002E 0002B55A
	v_add3_u32 v16, v90, v19, 1                                // 0000000099EC: D1FF0010 0206275A
	v_cndmask_b32_e64 v4, v16, v18, s[46:47]                   // 0000000099F4: D1000004 00BA2510
	v_cmp_u_f32_e64 s[46:47], v91, v91                         // 0000000099FC: D048002E 0002B75B
	v_add3_u32 v16, v91, v19, 1                                // 000000009A04: D1FF0010 0206275B
	v_cndmask_b32_e64 v5, v16, v18, s[46:47]                   // 000000009A0C: D1000005 00BA2510
	v_perm_b32 v79, v5, v4, s52                                // 000000009A14: D1ED004F 00D20905
	v_cmp_u_f32_e64 s[46:47], v92, v92                         // 000000009A1C: D048002E 0002B95C
	v_add3_u32 v16, v92, v19, 1                                // 000000009A24: D1FF0010 0206275C
	v_cndmask_b32_e64 v4, v16, v18, s[46:47]                   // 000000009A2C: D1000004 00BA2510
	v_cmp_u_f32_e64 s[46:47], v93, v93                         // 000000009A34: D048002E 0002BB5D
	v_add3_u32 v16, v93, v19, 1                                // 000000009A3C: D1FF0010 0206275D
	v_cndmask_b32_e64 v5, v16, v18, s[46:47]                   // 000000009A44: D1000005 00BA2510
	v_perm_b32 v80, v5, v4, s52                                // 000000009A4C: D1ED0050 00D20905
	v_cmp_u_f32_e64 s[46:47], v94, v94                         // 000000009A54: D048002E 0002BD5E
	v_add3_u32 v16, v94, v19, 1                                // 000000009A5C: D1FF0010 0206275E
	v_cndmask_b32_e64 v4, v16, v18, s[46:47]                   // 000000009A64: D1000004 00BA2510
	v_cmp_u_f32_e64 s[46:47], v95, v95                         // 000000009A6C: D048002E 0002BF5F
	v_add3_u32 v16, v95, v19, 1                                // 000000009A74: D1FF0010 0206275F
	v_cndmask_b32_e64 v5, v16, v18, s[46:47]                   // 000000009A7C: D1000005 00BA2510
	v_perm_b32 v81, v5, v4, s52                                // 000000009A84: D1ED0051 00D20905
	v_cmp_u_f32_e64 s[46:47], v96, v96                         // 000000009A8C: D048002E 0002C160
	v_add3_u32 v16, v96, v19, 1                                // 000000009A94: D1FF0010 02062760
	v_cndmask_b32_e64 v4, v16, v18, s[46:47]                   // 000000009A9C: D1000004 00BA2510
	v_cmp_u_f32_e64 s[46:47], v97, v97                         // 000000009AA4: D048002E 0002C361
	v_add3_u32 v16, v97, v19, 1                                // 000000009AAC: D1FF0010 02062761
	v_cndmask_b32_e64 v5, v16, v18, s[46:47]                   // 000000009AB4: D1000005 00BA2510
	v_perm_b32 v82, v5, v4, s52                                // 000000009ABC: D1ED0052 00D20905
	v_cmp_u_f32_e64 s[46:47], v98, v98                         // 000000009AC4: D048002E 0002C562
	v_add3_u32 v16, v98, v19, 1                                // 000000009ACC: D1FF0010 02062762
	v_cndmask_b32_e64 v4, v16, v18, s[46:47]                   // 000000009AD4: D1000004 00BA2510
	v_cmp_u_f32_e64 s[46:47], v99, v99                         // 000000009ADC: D048002E 0002C763
	v_add3_u32 v16, v99, v19, 1                                // 000000009AE4: D1FF0010 02062763
	v_cndmask_b32_e64 v5, v16, v18, s[46:47]                   // 000000009AEC: D1000005 00BA2510
	v_perm_b32 v83, v5, v4, s52                                // 000000009AF4: D1ED0053 00D20905
	v_cmp_u_f32_e64 s[46:47], v100, v100                       // 000000009AFC: D048002E 0002C964
	v_add3_u32 v16, v100, v19, 1                               // 000000009B04: D1FF0010 02062764
	v_cndmask_b32_e64 v4, v16, v18, s[46:47]                   // 000000009B0C: D1000004 00BA2510
	v_cmp_u_f32_e64 s[46:47], v101, v101                       // 000000009B14: D048002E 0002CB65
	v_add3_u32 v16, v101, v19, 1                               // 000000009B1C: D1FF0010 02062765
	v_cndmask_b32_e64 v5, v16, v18, s[46:47]                   // 000000009B24: D1000005 00BA2510
	v_perm_b32 v84, v5, v4, s52                                // 000000009B2C: D1ED0054 00D20905
	v_cmp_u_f32_e64 s[46:47], v102, v102                       // 000000009B34: D048002E 0002CD66
	v_add3_u32 v16, v102, v19, 1                               // 000000009B3C: D1FF0010 02062766
	v_cndmask_b32_e64 v4, v16, v18, s[46:47]                   // 000000009B44: D1000004 00BA2510
	v_cmp_u_f32_e64 s[46:47], v103, v103                       // 000000009B4C: D048002E 0002CF67
	v_add3_u32 v16, v103, v19, 1                               // 000000009B54: D1FF0010 02062767
	v_cndmask_b32_e64 v5, v16, v18, s[46:47]                   // 000000009B5C: D1000005 00BA2510
	v_perm_b32 v85, v5, v4, s52                                // 000000009B64: D1ED0055 00D20905
	v_cmp_u_f32_e64 s[46:47], v104, v104                       // 000000009B6C: D048002E 0002D168
	v_add3_u32 v16, v104, v19, 1                               // 000000009B74: D1FF0010 02062768
	v_cndmask_b32_e64 v4, v16, v18, s[46:47]                   // 000000009B7C: D1000004 00BA2510
	v_cmp_u_f32_e64 s[46:47], v105, v105                       // 000000009B84: D048002E 0002D369
	v_add3_u32 v16, v105, v19, 1                               // 000000009B8C: D1FF0010 02062769
	v_cndmask_b32_e64 v5, v16, v18, s[46:47]                   // 000000009B94: D1000005 00BA2510
	v_perm_b32 v86, v5, v4, s52                                // 000000009B9C: D1ED0056 00D20905
	v_cmp_u_f32_e64 s[46:47], v106, v106                       // 000000009BA4: D048002E 0002D56A
	v_add3_u32 v16, v106, v19, 1                               // 000000009BAC: D1FF0010 0206276A
	v_cndmask_b32_e64 v4, v16, v18, s[46:47]                   // 000000009BB4: D1000004 00BA2510
	v_cmp_u_f32_e64 s[46:47], v107, v107                       // 000000009BBC: D048002E 0002D76B
	v_add3_u32 v16, v107, v19, 1                               // 000000009BC4: D1FF0010 0206276B
	v_cndmask_b32_e64 v5, v16, v18, s[46:47]                   // 000000009BCC: D1000005 00BA2510
	v_perm_b32 v87, v5, v4, s52                                // 000000009BD4: D1ED0057 00D20905
	v_cmp_u_f32_e64 s[46:47], v108, v108                       // 000000009BDC: D048002E 0002D96C
	v_add3_u32 v16, v108, v19, 1                               // 000000009BE4: D1FF0010 0206276C
	v_cndmask_b32_e64 v4, v16, v18, s[46:47]                   // 000000009BEC: D1000004 00BA2510
	v_cmp_u_f32_e64 s[46:47], v109, v109                       // 000000009BF4: D048002E 0002DB6D
	v_add3_u32 v16, v109, v19, 1                               // 000000009BFC: D1FF0010 0206276D
	v_cndmask_b32_e64 v5, v16, v18, s[46:47]                   // 000000009C04: D1000005 00BA2510
	v_perm_b32 v88, v5, v4, s52                                // 000000009C0C: D1ED0058 00D20905
	v_cmp_u_f32_e64 s[46:47], v110, v110                       // 000000009C14: D048002E 0002DD6E
	v_add3_u32 v16, v110, v19, 1                               // 000000009C1C: D1FF0010 0206276E
	v_cndmask_b32_e64 v4, v16, v18, s[46:47]                   // 000000009C24: D1000004 00BA2510
	v_cmp_u_f32_e64 s[46:47], v111, v111                       // 000000009C2C: D048002E 0002DF6F
	v_add3_u32 v16, v111, v19, 1                               // 000000009C34: D1FF0010 0206276F
	v_cndmask_b32_e64 v5, v16, v18, s[46:47]                   // 000000009C3C: D1000005 00BA2510
	v_perm_b32 v89, v5, v4, s52                                // 000000009C44: D1ED0059 00D20905
	v_cmp_u_f32_e64 s[46:47], v112, v112                       // 000000009C4C: D048002E 0002E170
	v_add3_u32 v16, v112, v19, 1                               // 000000009C54: D1FF0010 02062770
	v_cndmask_b32_e64 v4, v16, v18, s[46:47]                   // 000000009C5C: D1000004 00BA2510
	v_cmp_u_f32_e64 s[46:47], v113, v113                       // 000000009C64: D048002E 0002E371
	v_add3_u32 v16, v113, v19, 1                               // 000000009C6C: D1FF0010 02062771
	v_cndmask_b32_e64 v5, v16, v18, s[46:47]                   // 000000009C74: D1000005 00BA2510
	v_perm_b32 v90, v5, v4, s52                                // 000000009C7C: D1ED005A 00D20905
	v_cmp_u_f32_e64 s[46:47], v114, v114                       // 000000009C84: D048002E 0002E572
	v_add3_u32 v16, v114, v19, 1                               // 000000009C8C: D1FF0010 02062772
	v_cndmask_b32_e64 v4, v16, v18, s[46:47]                   // 000000009C94: D1000004 00BA2510
	v_cmp_u_f32_e64 s[46:47], v115, v115                       // 000000009C9C: D048002E 0002E773
	v_add3_u32 v16, v115, v19, 1                               // 000000009CA4: D1FF0010 02062773
	v_cndmask_b32_e64 v5, v16, v18, s[46:47]                   // 000000009CAC: D1000005 00BA2510
	v_perm_b32 v91, v5, v4, s52                                // 000000009CB4: D1ED005B 00D20905
	ds_write_b64 v20, v[68:69]                                 // 000000009CBC: D89A0000 00004414
	ds_write_b64 v20, v[70:71] offset:4352                     // 000000009CC4: D89A1100 00004614
	ds_write_b64 v20, v[72:73] offset:8704                     // 000000009CCC: D89A2200 00004814
	ds_write_b64 v20, v[74:75] offset:13056                    // 000000009CD4: D89A3300 00004A14
	ds_write_b64 v20, v[76:77] offset:17408                    // 000000009CDC: D89A4400 00004C14
	ds_write_b64 v20, v[78:79] offset:21760                    // 000000009CE4: D89A5500 00004E14
	ds_write_b64 v20, v[80:81] offset:2176                     // 000000009CEC: D89A0880 00005014
	ds_write_b64 v20, v[82:83] offset:6528                     // 000000009CF4: D89A1980 00005214
	ds_write_b64 v20, v[84:85] offset:10880                    // 000000009CFC: D89A2A80 00005414
	ds_write_b64 v20, v[86:87] offset:15232                    // 000000009D04: D89A3B80 00005614
	ds_write_b64 v20, v[88:89] offset:19584                    // 000000009D0C: D89A4C80 00005814
	ds_write_b64 v20, v[90:91] offset:23936                    // 000000009D14: D89A5D80 00005A14
	v_lshrrev_b32_e32 v4, 5, v0                                // 000000009D1C: 20080085
	v_xor_b32_e32 v5, 1, v4                                    // 000000009D20: 2A0A0881
	s_mul_i32 s60, s65, 2                                      // 000000009D24: 923C8241
	s_cmp_eq_u32 s88, 0                                        // 000000009D28: BF068058
	s_cselect_b32 s61, 1, 4                                    // 000000009D2C: 853D8481
	s_mul_i32 s60, s61, s60                                    // 000000009D30: 923C3C3D
	v_readlane_b32 s82, v3, 0                                  // 000000009D34: D2890052 00010103
	s_lshr_b32 s61, s82, 24                                    // 000000009D3C: 8F3D9852
	s_and_b32 s82, s82, 0xffffff                               // 000000009D40: 8652FF52 00FFFFFF
	s_mul_i32 s82, s82, s71                                    // 000000009D48: 92524752
	s_mul_i32 s61, s60, s61                                    // 000000009D4C: 923D3D3C
	s_add_u32 s82, s82, s61                                    // 000000009D50: 80523D52
	v_mul_lo_u32 v6, v5, s82                                   // 000000009D54: D2850006 0000A505
	v_readlane_b32 s82, v3, 1                                  // 000000009D5C: D2890052 00010303
	s_lshr_b32 s61, s82, 24                                    // 000000009D64: 8F3D9852
	s_and_b32 s82, s82, 0xffffff                               // 000000009D68: 8652FF52 00FFFFFF
	s_mul_i32 s82, s82, s71                                    // 000000009D70: 92524752
	s_mul_i32 s61, s60, s61                                    // 000000009D74: 923D3D3C
	s_add_u32 s82, s82, s61                                    // 000000009D78: 80523D52
	v_mul_lo_u32 v7, v4, s82                                   // 000000009D7C: D2850007 0000A504
	v_add_u32_e32 v52, v6, v7                                  // 000000009D84: 68680F06
	v_readlane_b32 s82, v3, 2                                  // 000000009D88: D2890052 00010503
	s_lshr_b32 s61, s82, 24                                    // 000000009D90: 8F3D9852
	s_and_b32 s82, s82, 0xffffff                               // 000000009D94: 8652FF52 00FFFFFF
	s_mul_i32 s82, s82, s71                                    // 000000009D9C: 92524752
	s_mul_i32 s61, s60, s61                                    // 000000009DA0: 923D3D3C
	s_add_u32 s82, s82, s61                                    // 000000009DA4: 80523D52
	v_mul_lo_u32 v6, v5, s82                                   // 000000009DA8: D2850006 0000A505
	v_readlane_b32 s82, v3, 3                                  // 000000009DB0: D2890052 00010703
	s_lshr_b32 s61, s82, 24                                    // 000000009DB8: 8F3D9852
	s_and_b32 s82, s82, 0xffffff                               // 000000009DBC: 8652FF52 00FFFFFF
	s_mul_i32 s82, s82, s71                                    // 000000009DC4: 92524752
	s_mul_i32 s61, s60, s61                                    // 000000009DC8: 923D3D3C
	s_add_u32 s82, s82, s61                                    // 000000009DCC: 80523D52
	v_mul_lo_u32 v7, v4, s82                                   // 000000009DD0: D2850007 0000A504
	v_add_u32_e32 v53, v6, v7                                  // 000000009DD8: 686A0F06
	v_readlane_b32 s82, v3, 4                                  // 000000009DDC: D2890052 00010903
	s_lshr_b32 s61, s82, 24                                    // 000000009DE4: 8F3D9852
	s_and_b32 s82, s82, 0xffffff                               // 000000009DE8: 8652FF52 00FFFFFF
	s_mul_i32 s82, s82, s71                                    // 000000009DF0: 92524752
	s_mul_i32 s61, s60, s61                                    // 000000009DF4: 923D3D3C
	s_add_u32 s82, s82, s61                                    // 000000009DF8: 80523D52
	v_mul_lo_u32 v6, v5, s82                                   // 000000009DFC: D2850006 0000A505
	v_readlane_b32 s82, v3, 5                                  // 000000009E04: D2890052 00010B03
	s_lshr_b32 s61, s82, 24                                    // 000000009E0C: 8F3D9852
	s_and_b32 s82, s82, 0xffffff                               // 000000009E10: 8652FF52 00FFFFFF
	s_mul_i32 s82, s82, s71                                    // 000000009E18: 92524752
	s_mul_i32 s61, s60, s61                                    // 000000009E1C: 923D3D3C
	s_add_u32 s82, s82, s61                                    // 000000009E20: 80523D52
	v_mul_lo_u32 v7, v4, s82                                   // 000000009E24: D2850007 0000A504
	v_add_u32_e32 v54, v6, v7                                  // 000000009E2C: 686C0F06
	v_readlane_b32 s82, v3, 6                                  // 000000009E30: D2890052 00010D03
	s_lshr_b32 s61, s82, 24                                    // 000000009E38: 8F3D9852
	s_and_b32 s82, s82, 0xffffff                               // 000000009E3C: 8652FF52 00FFFFFF
	s_mul_i32 s82, s82, s71                                    // 000000009E44: 92524752
	s_mul_i32 s61, s60, s61                                    // 000000009E48: 923D3D3C
	s_add_u32 s82, s82, s61                                    // 000000009E4C: 80523D52
	v_mul_lo_u32 v6, v5, s82                                   // 000000009E50: D2850006 0000A505
	v_readlane_b32 s82, v3, 7                                  // 000000009E58: D2890052 00010F03
	s_lshr_b32 s61, s82, 24                                    // 000000009E60: 8F3D9852
	s_and_b32 s82, s82, 0xffffff                               // 000000009E64: 8652FF52 00FFFFFF
	s_mul_i32 s82, s82, s71                                    // 000000009E6C: 92524752
	s_mul_i32 s61, s60, s61                                    // 000000009E70: 923D3D3C
	s_add_u32 s82, s82, s61                                    // 000000009E74: 80523D52
	v_mul_lo_u32 v7, v4, s82                                   // 000000009E78: D2850007 0000A504
	v_add_u32_e32 v55, v6, v7                                  // 000000009E80: 686E0F06
	v_readlane_b32 s82, v3, 8                                  // 000000009E84: D2890052 00011103
	s_lshr_b32 s61, s82, 24                                    // 000000009E8C: 8F3D9852
	s_and_b32 s82, s82, 0xffffff                               // 000000009E90: 8652FF52 00FFFFFF
	s_mul_i32 s82, s82, s71                                    // 000000009E98: 92524752
	s_mul_i32 s61, s60, s61                                    // 000000009E9C: 923D3D3C
	s_add_u32 s82, s82, s61                                    // 000000009EA0: 80523D52
	v_mul_lo_u32 v6, v5, s82                                   // 000000009EA4: D2850006 0000A505
	v_readlane_b32 s82, v3, 9                                  // 000000009EAC: D2890052 00011303
	s_lshr_b32 s61, s82, 24                                    // 000000009EB4: 8F3D9852
	s_and_b32 s82, s82, 0xffffff                               // 000000009EB8: 8652FF52 00FFFFFF
	s_mul_i32 s82, s82, s71                                    // 000000009EC0: 92524752
	s_mul_i32 s61, s60, s61                                    // 000000009EC4: 923D3D3C
	s_add_u32 s82, s82, s61                                    // 000000009EC8: 80523D52
	v_mul_lo_u32 v7, v4, s82                                   // 000000009ECC: D2850007 0000A504
	v_add_u32_e32 v56, v6, v7                                  // 000000009ED4: 68700F06
	v_readlane_b32 s82, v3, 10                                 // 000000009ED8: D2890052 00011503
	s_lshr_b32 s61, s82, 24                                    // 000000009EE0: 8F3D9852
	s_and_b32 s82, s82, 0xffffff                               // 000000009EE4: 8652FF52 00FFFFFF
	s_mul_i32 s82, s82, s71                                    // 000000009EEC: 92524752
	s_mul_i32 s61, s60, s61                                    // 000000009EF0: 923D3D3C
	s_add_u32 s82, s82, s61                                    // 000000009EF4: 80523D52
	v_mul_lo_u32 v6, v5, s82                                   // 000000009EF8: D2850006 0000A505
	v_readlane_b32 s82, v3, 11                                 // 000000009F00: D2890052 00011703
	s_lshr_b32 s61, s82, 24                                    // 000000009F08: 8F3D9852
	s_and_b32 s82, s82, 0xffffff                               // 000000009F0C: 8652FF52 00FFFFFF
	s_mul_i32 s82, s82, s71                                    // 000000009F14: 92524752
	s_mul_i32 s61, s60, s61                                    // 000000009F18: 923D3D3C
	s_add_u32 s82, s82, s61                                    // 000000009F1C: 80523D52
	v_mul_lo_u32 v7, v4, s82                                   // 000000009F20: D2850007 0000A504
	v_add_u32_e32 v57, v6, v7                                  // 000000009F28: 68720F06
	v_readlane_b32 s82, v3, 12                                 // 000000009F2C: D2890052 00011903
	s_lshr_b32 s61, s82, 24                                    // 000000009F34: 8F3D9852
	s_and_b32 s82, s82, 0xffffff                               // 000000009F38: 8652FF52 00FFFFFF
	s_mul_i32 s82, s82, s71                                    // 000000009F40: 92524752
	s_mul_i32 s61, s60, s61                                    // 000000009F44: 923D3D3C
	s_add_u32 s82, s82, s61                                    // 000000009F48: 80523D52
	v_mul_lo_u32 v6, v5, s82                                   // 000000009F4C: D2850006 0000A505
	v_readlane_b32 s82, v3, 13                                 // 000000009F54: D2890052 00011B03
	s_lshr_b32 s61, s82, 24                                    // 000000009F5C: 8F3D9852
	s_and_b32 s82, s82, 0xffffff                               // 000000009F60: 8652FF52 00FFFFFF
	s_mul_i32 s82, s82, s71                                    // 000000009F68: 92524752
	s_mul_i32 s61, s60, s61                                    // 000000009F6C: 923D3D3C
	s_add_u32 s82, s82, s61                                    // 000000009F70: 80523D52
	v_mul_lo_u32 v7, v4, s82                                   // 000000009F74: D2850007 0000A504
	v_add_u32_e32 v58, v6, v7                                  // 000000009F7C: 68740F06
	v_readlane_b32 s82, v3, 14                                 // 000000009F80: D2890052 00011D03
	s_lshr_b32 s61, s82, 24                                    // 000000009F88: 8F3D9852
	s_and_b32 s82, s82, 0xffffff                               // 000000009F8C: 8652FF52 00FFFFFF
	s_mul_i32 s82, s82, s71                                    // 000000009F94: 92524752
	s_mul_i32 s61, s60, s61                                    // 000000009F98: 923D3D3C
	s_add_u32 s82, s82, s61                                    // 000000009F9C: 80523D52
	v_mul_lo_u32 v6, v5, s82                                   // 000000009FA0: D2850006 0000A505
	v_readlane_b32 s82, v3, 15                                 // 000000009FA8: D2890052 00011F03
	s_lshr_b32 s61, s82, 24                                    // 000000009FB0: 8F3D9852
	s_and_b32 s82, s82, 0xffffff                               // 000000009FB4: 8652FF52 00FFFFFF
	s_mul_i32 s82, s82, s71                                    // 000000009FBC: 92524752
	s_mul_i32 s61, s60, s61                                    // 000000009FC0: 923D3D3C
	s_add_u32 s82, s82, s61                                    // 000000009FC4: 80523D52
	v_mul_lo_u32 v7, v4, s82                                   // 000000009FC8: D2850007 0000A504
	v_add_u32_e32 v59, v6, v7                                  // 000000009FD0: 68760F06
	v_readlane_b32 s82, v3, 16                                 // 000000009FD4: D2890052 00012103
	s_lshr_b32 s61, s82, 24                                    // 000000009FDC: 8F3D9852
	s_and_b32 s82, s82, 0xffffff                               // 000000009FE0: 8652FF52 00FFFFFF
	s_mul_i32 s82, s82, s71                                    // 000000009FE8: 92524752
	s_mul_i32 s61, s60, s61                                    // 000000009FEC: 923D3D3C
	s_add_u32 s82, s82, s61                                    // 000000009FF0: 80523D52
	v_mul_lo_u32 v6, v5, s82                                   // 000000009FF4: D2850006 0000A505
	v_readlane_b32 s82, v3, 17                                 // 000000009FFC: D2890052 00012303
	s_lshr_b32 s61, s82, 24                                    // 00000000A004: 8F3D9852
	s_and_b32 s82, s82, 0xffffff                               // 00000000A008: 8652FF52 00FFFFFF
	s_mul_i32 s82, s82, s71                                    // 00000000A010: 92524752
	s_mul_i32 s61, s60, s61                                    // 00000000A014: 923D3D3C
	s_add_u32 s82, s82, s61                                    // 00000000A018: 80523D52
	v_mul_lo_u32 v7, v4, s82                                   // 00000000A01C: D2850007 0000A504
	v_add_u32_e32 v60, v6, v7                                  // 00000000A024: 68780F06
	v_readlane_b32 s82, v3, 18                                 // 00000000A028: D2890052 00012503
	s_lshr_b32 s61, s82, 24                                    // 00000000A030: 8F3D9852
	s_and_b32 s82, s82, 0xffffff                               // 00000000A034: 8652FF52 00FFFFFF
	s_mul_i32 s82, s82, s71                                    // 00000000A03C: 92524752
	s_mul_i32 s61, s60, s61                                    // 00000000A040: 923D3D3C
	s_add_u32 s82, s82, s61                                    // 00000000A044: 80523D52
	v_mul_lo_u32 v6, v5, s82                                   // 00000000A048: D2850006 0000A505
	v_readlane_b32 s82, v3, 19                                 // 00000000A050: D2890052 00012703
	s_lshr_b32 s61, s82, 24                                    // 00000000A058: 8F3D9852
	s_and_b32 s82, s82, 0xffffff                               // 00000000A05C: 8652FF52 00FFFFFF
	s_mul_i32 s82, s82, s71                                    // 00000000A064: 92524752
	s_mul_i32 s61, s60, s61                                    // 00000000A068: 923D3D3C
	s_add_u32 s82, s82, s61                                    // 00000000A06C: 80523D52
	v_mul_lo_u32 v7, v4, s82                                   // 00000000A070: D2850007 0000A504
	v_add_u32_e32 v61, v6, v7                                  // 00000000A078: 687A0F06
	v_readlane_b32 s82, v3, 20                                 // 00000000A07C: D2890052 00012903
	s_lshr_b32 s61, s82, 24                                    // 00000000A084: 8F3D9852
	s_and_b32 s82, s82, 0xffffff                               // 00000000A088: 8652FF52 00FFFFFF
	s_mul_i32 s82, s82, s71                                    // 00000000A090: 92524752
	s_mul_i32 s61, s60, s61                                    // 00000000A094: 923D3D3C
	s_add_u32 s82, s82, s61                                    // 00000000A098: 80523D52
	v_mul_lo_u32 v6, v5, s82                                   // 00000000A09C: D2850006 0000A505
	v_readlane_b32 s82, v3, 21                                 // 00000000A0A4: D2890052 00012B03
	s_lshr_b32 s61, s82, 24                                    // 00000000A0AC: 8F3D9852
	s_and_b32 s82, s82, 0xffffff                               // 00000000A0B0: 8652FF52 00FFFFFF
	s_mul_i32 s82, s82, s71                                    // 00000000A0B8: 92524752
	s_mul_i32 s61, s60, s61                                    // 00000000A0BC: 923D3D3C
	s_add_u32 s82, s82, s61                                    // 00000000A0C0: 80523D52
	v_mul_lo_u32 v7, v4, s82                                   // 00000000A0C4: D2850007 0000A504
	v_add_u32_e32 v62, v6, v7                                  // 00000000A0CC: 687C0F06
	v_readlane_b32 s82, v3, 22                                 // 00000000A0D0: D2890052 00012D03
	s_lshr_b32 s61, s82, 24                                    // 00000000A0D8: 8F3D9852
	s_and_b32 s82, s82, 0xffffff                               // 00000000A0DC: 8652FF52 00FFFFFF
	s_mul_i32 s82, s82, s71                                    // 00000000A0E4: 92524752
	s_mul_i32 s61, s60, s61                                    // 00000000A0E8: 923D3D3C
	s_add_u32 s82, s82, s61                                    // 00000000A0EC: 80523D52
	v_mul_lo_u32 v6, v5, s82                                   // 00000000A0F0: D2850006 0000A505
	v_readlane_b32 s82, v3, 23                                 // 00000000A0F8: D2890052 00012F03
	s_lshr_b32 s61, s82, 24                                    // 00000000A100: 8F3D9852
	s_and_b32 s82, s82, 0xffffff                               // 00000000A104: 8652FF52 00FFFFFF
	s_mul_i32 s82, s82, s71                                    // 00000000A10C: 92524752
	s_mul_i32 s61, s60, s61                                    // 00000000A110: 923D3D3C
	s_add_u32 s82, s82, s61                                    // 00000000A114: 80523D52
	v_mul_lo_u32 v7, v4, s82                                   // 00000000A118: D2850007 0000A504
	v_add_u32_e32 v63, v6, v7                                  // 00000000A120: 687E0F06
	v_and_b32_e32 v4, 31, v0                                   // 00000000A124: 2608009F
	v_lshrrev_b32_e32 v4, 1, v4                                // 00000000A128: 20080881
	s_cmp_eq_u32 s88, 0                                        // 00000000A12C: BF068058
	s_cselect_b32 s61, 2, 4                                    // 00000000A130: 853D8482
	v_mul_lo_u32 v4, v4, s61                                   // 00000000A134: D2850004 00007B04
	v_and_b32_e64 v5, v0, 1                                    // 00000000A13C: D1130005 00010300
	v_add_u32_e32 v4, v4, v5                                   // 00000000A144: 68080B04
	v_lshlrev_b32_e32 v4, 2, v4                                // 00000000A148: 24080882
	v_add_u32_e32 v52, v52, v4                                 // 00000000A14C: 68680934
	v_add_u32_e32 v53, v53, v4                                 // 00000000A150: 686A0935
	v_add_u32_e32 v54, v54, v4                                 // 00000000A154: 686C0936
	v_add_u32_e32 v55, v55, v4                                 // 00000000A158: 686E0937
	v_add_u32_e32 v56, v56, v4                                 // 00000000A15C: 68700938
	v_add_u32_e32 v57, v57, v4                                 // 00000000A160: 68720939
	v_add_u32_e32 v58, v58, v4                                 // 00000000A164: 6874093A
	v_add_u32_e32 v59, v59, v4                                 // 00000000A168: 6876093B
	v_add_u32_e32 v60, v60, v4                                 // 00000000A16C: 6878093C
	v_add_u32_e32 v61, v61, v4                                 // 00000000A170: 687A093D
	v_add_u32_e32 v62, v62, v4                                 // 00000000A174: 687C093E
	v_add_u32_e32 v63, v63, v4                                 // 00000000A178: 687E093F
	s_waitcnt lgkmcnt(0)                                       // 00000000A17C: BF8CC07F
	s_barrier                                                  // 00000000A180: BF8A0000
	ds_read_b32 v68, v21                                       // 00000000A184: D86C0000 44000015
	ds_read_b32 v69, v21 offset:64                             // 00000000A18C: D86C0040 45000015
	ds_read_b32 v70, v21 offset:2176                           // 00000000A194: D86C0880 46000015
	ds_read_b32 v71, v21 offset:2240                           // 00000000A19C: D86C08C0 47000015
	ds_read_b32 v72, v21 offset:4352                           // 00000000A1A4: D86C1100 48000015
	ds_read_b32 v73, v21 offset:4416                           // 00000000A1AC: D86C1140 49000015
	ds_read_b32 v74, v21 offset:6528                           // 00000000A1B4: D86C1980 4A000015
	ds_read_b32 v75, v21 offset:6592                           // 00000000A1BC: D86C19C0 4B000015
	ds_read_b32 v76, v21 offset:8704                           // 00000000A1C4: D86C2200 4C000015
	ds_read_b32 v77, v21 offset:8768                           // 00000000A1CC: D86C2240 4D000015
	ds_read_b32 v78, v21 offset:10880                          // 00000000A1D4: D86C2A80 4E000015
	ds_read_b32 v79, v21 offset:10944                          // 00000000A1DC: D86C2AC0 4F000015
	ds_read_b32 v80, v21 offset:13056                          // 00000000A1E4: D86C3300 50000015
	ds_read_b32 v81, v21 offset:13120                          // 00000000A1EC: D86C3340 51000015
	ds_read_b32 v82, v21 offset:15232                          // 00000000A1F4: D86C3B80 52000015
	ds_read_b32 v83, v21 offset:15296                          // 00000000A1FC: D86C3BC0 53000015
	ds_read_b32 v84, v21 offset:17408                          // 00000000A204: D86C4400 54000015
	ds_read_b32 v85, v21 offset:17472                          // 00000000A20C: D86C4440 55000015
	ds_read_b32 v86, v21 offset:19584                          // 00000000A214: D86C4C80 56000015
	ds_read_b32 v87, v21 offset:19648                          // 00000000A21C: D86C4CC0 57000015
	ds_read_b32 v88, v21 offset:21760                          // 00000000A224: D86C5500 58000015
	ds_read_b32 v89, v21 offset:21824                          // 00000000A22C: D86C5540 59000015
	ds_read_b32 v90, v21 offset:23936                          // 00000000A234: D86C5D80 5A000015
	ds_read_b32 v91, v21 offset:24000                          // 00000000A23C: D86C5DC0 5B000015
	s_waitcnt lgkmcnt(0)                                       // 00000000A244: BF8CC07F
	s_mov_b32 s36, -1                                          // 00000000A248: BEA400C1
	s_mov_b32 s37, -1                                          // 00000000A24C: BEA500C1
	v_mov_b32_e32 v7, 0                                        // 00000000A250: 7E0E0280
	s_or_b32 s9, s9, 0x40000                                   // 00000000A254: 8709FF09 00040000
	s_mov_b64 exec, s[36:37]                                   // 00000000A25C: BEFE0124
	v_mov_b32_e32 v6, v52                                      // 00000000A260: 7E0C0334
	s_mov_b64 s[60:61], 0                                      // 00000000A264: BEBC0180
	v_readlane_b32 s82, v3, 0                                  // 00000000A268: D2890052 00010103
	s_and_b32 s82, s82, 0xffffff                               // 00000000A270: 8652FF52 00FFFFFF
	s_cmp_lt_u32 s82, s66                                      // 00000000A278: BF0A4252
	s_cselect_b32 s20, s36, s60                                // 00000000A27C: 85143C24
	v_readlane_b32 s82, v3, 1                                  // 00000000A280: D2890052 00010303
	s_and_b32 s82, s82, 0xffffff                               // 00000000A288: 8652FF52 00FFFFFF
	s_cmp_lt_u32 s82, s66                                      // 00000000A290: BF0A4252
	s_cselect_b32 s21, s36, s60                                // 00000000A294: 85153C24
	s_mov_b64 exec, s[20:21]                                   // 00000000A298: BEFE0114
	buffer_store_dword v68, v6, s[8:11], 0 offen               // 00000000A29C: E0701000 80024406
	buffer_store_dword v70, v6, s[8:11], 0 offen offset:128    // 00000000A2A4: E0701080 80024606
	s_mov_b64 exec, s[36:37]                                   // 00000000A2AC: BEFE0124
	v_mov_b32_e32 v6, v53                                      // 00000000A2B0: 7E0C0335
	s_mov_b64 s[60:61], 0                                      // 00000000A2B4: BEBC0180
	v_readlane_b32 s82, v3, 2                                  // 00000000A2B8: D2890052 00010503
	s_and_b32 s82, s82, 0xffffff                               // 00000000A2C0: 8652FF52 00FFFFFF
	s_cmp_lt_u32 s82, s66                                      // 00000000A2C8: BF0A4252
	s_cselect_b32 s20, s36, s60                                // 00000000A2CC: 85143C24
	v_readlane_b32 s82, v3, 3                                  // 00000000A2D0: D2890052 00010703
	s_and_b32 s82, s82, 0xffffff                               // 00000000A2D8: 8652FF52 00FFFFFF
	s_cmp_lt_u32 s82, s66                                      // 00000000A2E0: BF0A4252
	s_cselect_b32 s21, s36, s60                                // 00000000A2E4: 85153C24
	s_mov_b64 exec, s[20:21]                                   // 00000000A2E8: BEFE0114
	buffer_store_dword v69, v6, s[8:11], 0 offen               // 00000000A2EC: E0701000 80024506
	buffer_store_dword v71, v6, s[8:11], 0 offen offset:128    // 00000000A2F4: E0701080 80024706
	s_mov_b64 exec, s[36:37]                                   // 00000000A2FC: BEFE0124
	v_mov_b32_e32 v6, v54                                      // 00000000A300: 7E0C0336
	s_mov_b64 s[60:61], 0                                      // 00000000A304: BEBC0180
	v_readlane_b32 s82, v3, 4                                  // 00000000A308: D2890052 00010903
	s_and_b32 s82, s82, 0xffffff                               // 00000000A310: 8652FF52 00FFFFFF
	s_cmp_lt_u32 s82, s66                                      // 00000000A318: BF0A4252
	s_cselect_b32 s20, s36, s60                                // 00000000A31C: 85143C24
	v_readlane_b32 s82, v3, 5                                  // 00000000A320: D2890052 00010B03
	s_and_b32 s82, s82, 0xffffff                               // 00000000A328: 8652FF52 00FFFFFF
	s_cmp_lt_u32 s82, s66                                      // 00000000A330: BF0A4252
	s_cselect_b32 s21, s36, s60                                // 00000000A334: 85153C24
	s_mov_b64 exec, s[20:21]                                   // 00000000A338: BEFE0114
	buffer_store_dword v72, v6, s[8:11], 0 offen               // 00000000A33C: E0701000 80024806
	buffer_store_dword v74, v6, s[8:11], 0 offen offset:128    // 00000000A344: E0701080 80024A06
	s_mov_b64 exec, s[36:37]                                   // 00000000A34C: BEFE0124
	v_mov_b32_e32 v6, v55                                      // 00000000A350: 7E0C0337
	s_mov_b64 s[60:61], 0                                      // 00000000A354: BEBC0180
	v_readlane_b32 s82, v3, 6                                  // 00000000A358: D2890052 00010D03
	s_and_b32 s82, s82, 0xffffff                               // 00000000A360: 8652FF52 00FFFFFF
	s_cmp_lt_u32 s82, s66                                      // 00000000A368: BF0A4252
	s_cselect_b32 s20, s36, s60                                // 00000000A36C: 85143C24
	v_readlane_b32 s82, v3, 7                                  // 00000000A370: D2890052 00010F03
	s_and_b32 s82, s82, 0xffffff                               // 00000000A378: 8652FF52 00FFFFFF
	s_cmp_lt_u32 s82, s66                                      // 00000000A380: BF0A4252
	s_cselect_b32 s21, s36, s60                                // 00000000A384: 85153C24
	s_mov_b64 exec, s[20:21]                                   // 00000000A388: BEFE0114
	buffer_store_dword v73, v6, s[8:11], 0 offen               // 00000000A38C: E0701000 80024906
	buffer_store_dword v75, v6, s[8:11], 0 offen offset:128    // 00000000A394: E0701080 80024B06
	s_mov_b64 exec, s[36:37]                                   // 00000000A39C: BEFE0124
	v_mov_b32_e32 v6, v56                                      // 00000000A3A0: 7E0C0338
	s_mov_b64 s[60:61], 0                                      // 00000000A3A4: BEBC0180
	v_readlane_b32 s82, v3, 8                                  // 00000000A3A8: D2890052 00011103
	s_and_b32 s82, s82, 0xffffff                               // 00000000A3B0: 8652FF52 00FFFFFF
	s_cmp_lt_u32 s82, s66                                      // 00000000A3B8: BF0A4252
	s_cselect_b32 s20, s36, s60                                // 00000000A3BC: 85143C24
	v_readlane_b32 s82, v3, 9                                  // 00000000A3C0: D2890052 00011303
	s_and_b32 s82, s82, 0xffffff                               // 00000000A3C8: 8652FF52 00FFFFFF
	s_cmp_lt_u32 s82, s66                                      // 00000000A3D0: BF0A4252
	s_cselect_b32 s21, s36, s60                                // 00000000A3D4: 85153C24
	s_mov_b64 exec, s[20:21]                                   // 00000000A3D8: BEFE0114
	buffer_store_dword v76, v6, s[8:11], 0 offen               // 00000000A3DC: E0701000 80024C06
	buffer_store_dword v78, v6, s[8:11], 0 offen offset:128    // 00000000A3E4: E0701080 80024E06
	s_mov_b64 exec, s[36:37]                                   // 00000000A3EC: BEFE0124
	v_mov_b32_e32 v6, v57                                      // 00000000A3F0: 7E0C0339
	s_mov_b64 s[60:61], 0                                      // 00000000A3F4: BEBC0180
	v_readlane_b32 s82, v3, 10                                 // 00000000A3F8: D2890052 00011503
	s_and_b32 s82, s82, 0xffffff                               // 00000000A400: 8652FF52 00FFFFFF
	s_cmp_lt_u32 s82, s66                                      // 00000000A408: BF0A4252
	s_cselect_b32 s20, s36, s60                                // 00000000A40C: 85143C24
	v_readlane_b32 s82, v3, 11                                 // 00000000A410: D2890052 00011703
	s_and_b32 s82, s82, 0xffffff                               // 00000000A418: 8652FF52 00FFFFFF
	s_cmp_lt_u32 s82, s66                                      // 00000000A420: BF0A4252
	s_cselect_b32 s21, s36, s60                                // 00000000A424: 85153C24
	s_mov_b64 exec, s[20:21]                                   // 00000000A428: BEFE0114
	buffer_store_dword v77, v6, s[8:11], 0 offen               // 00000000A42C: E0701000 80024D06
	buffer_store_dword v79, v6, s[8:11], 0 offen offset:128    // 00000000A434: E0701080 80024F06
	s_mov_b64 exec, s[36:37]                                   // 00000000A43C: BEFE0124
	v_mov_b32_e32 v6, v58                                      // 00000000A440: 7E0C033A
	s_mov_b64 s[60:61], 0                                      // 00000000A444: BEBC0180
	v_readlane_b32 s82, v3, 12                                 // 00000000A448: D2890052 00011903
	s_and_b32 s82, s82, 0xffffff                               // 00000000A450: 8652FF52 00FFFFFF
	s_cmp_lt_u32 s82, s66                                      // 00000000A458: BF0A4252
	s_cselect_b32 s20, s36, s60                                // 00000000A45C: 85143C24
	v_readlane_b32 s82, v3, 13                                 // 00000000A460: D2890052 00011B03
	s_and_b32 s82, s82, 0xffffff                               // 00000000A468: 8652FF52 00FFFFFF
	s_cmp_lt_u32 s82, s66                                      // 00000000A470: BF0A4252
	s_cselect_b32 s21, s36, s60                                // 00000000A474: 85153C24
	s_mov_b64 exec, s[20:21]                                   // 00000000A478: BEFE0114
	buffer_store_dword v80, v6, s[8:11], 0 offen               // 00000000A47C: E0701000 80025006
	buffer_store_dword v82, v6, s[8:11], 0 offen offset:128    // 00000000A484: E0701080 80025206
	s_mov_b64 exec, s[36:37]                                   // 00000000A48C: BEFE0124
	v_mov_b32_e32 v6, v59                                      // 00000000A490: 7E0C033B
	s_mov_b64 s[60:61], 0                                      // 00000000A494: BEBC0180
	v_readlane_b32 s82, v3, 14                                 // 00000000A498: D2890052 00011D03
	s_and_b32 s82, s82, 0xffffff                               // 00000000A4A0: 8652FF52 00FFFFFF
	s_cmp_lt_u32 s82, s66                                      // 00000000A4A8: BF0A4252
	s_cselect_b32 s20, s36, s60                                // 00000000A4AC: 85143C24
	v_readlane_b32 s82, v3, 15                                 // 00000000A4B0: D2890052 00011F03
	s_and_b32 s82, s82, 0xffffff                               // 00000000A4B8: 8652FF52 00FFFFFF
	s_cmp_lt_u32 s82, s66                                      // 00000000A4C0: BF0A4252
	s_cselect_b32 s21, s36, s60                                // 00000000A4C4: 85153C24
	s_mov_b64 exec, s[20:21]                                   // 00000000A4C8: BEFE0114
	buffer_store_dword v81, v6, s[8:11], 0 offen               // 00000000A4CC: E0701000 80025106
	buffer_store_dword v83, v6, s[8:11], 0 offen offset:128    // 00000000A4D4: E0701080 80025306
	s_mov_b64 exec, s[36:37]                                   // 00000000A4DC: BEFE0124
	v_mov_b32_e32 v6, v60                                      // 00000000A4E0: 7E0C033C
	s_mov_b64 s[60:61], 0                                      // 00000000A4E4: BEBC0180
	v_readlane_b32 s82, v3, 16                                 // 00000000A4E8: D2890052 00012103
	s_and_b32 s82, s82, 0xffffff                               // 00000000A4F0: 8652FF52 00FFFFFF
	s_cmp_lt_u32 s82, s66                                      // 00000000A4F8: BF0A4252
	s_cselect_b32 s20, s36, s60                                // 00000000A4FC: 85143C24
	v_readlane_b32 s82, v3, 17                                 // 00000000A500: D2890052 00012303
	s_and_b32 s82, s82, 0xffffff                               // 00000000A508: 8652FF52 00FFFFFF
	s_cmp_lt_u32 s82, s66                                      // 00000000A510: BF0A4252
	s_cselect_b32 s21, s36, s60                                // 00000000A514: 85153C24
	s_mov_b64 exec, s[20:21]                                   // 00000000A518: BEFE0114
	buffer_store_dword v84, v6, s[8:11], 0 offen               // 00000000A51C: E0701000 80025406
	buffer_store_dword v86, v6, s[8:11], 0 offen offset:128    // 00000000A524: E0701080 80025606
	s_mov_b64 exec, s[36:37]                                   // 00000000A52C: BEFE0124
	v_mov_b32_e32 v6, v61                                      // 00000000A530: 7E0C033D
	s_mov_b64 s[60:61], 0                                      // 00000000A534: BEBC0180
	v_readlane_b32 s82, v3, 18                                 // 00000000A538: D2890052 00012503
	s_and_b32 s82, s82, 0xffffff                               // 00000000A540: 8652FF52 00FFFFFF
	s_cmp_lt_u32 s82, s66                                      // 00000000A548: BF0A4252
	s_cselect_b32 s20, s36, s60                                // 00000000A54C: 85143C24
	v_readlane_b32 s82, v3, 19                                 // 00000000A550: D2890052 00012703
	s_and_b32 s82, s82, 0xffffff                               // 00000000A558: 8652FF52 00FFFFFF
	s_cmp_lt_u32 s82, s66                                      // 00000000A560: BF0A4252
	s_cselect_b32 s21, s36, s60                                // 00000000A564: 85153C24
	s_mov_b64 exec, s[20:21]                                   // 00000000A568: BEFE0114
	buffer_store_dword v85, v6, s[8:11], 0 offen               // 00000000A56C: E0701000 80025506
	buffer_store_dword v87, v6, s[8:11], 0 offen offset:128    // 00000000A574: E0701080 80025706
	s_mov_b64 exec, s[36:37]                                   // 00000000A57C: BEFE0124
	v_mov_b32_e32 v6, v62                                      // 00000000A580: 7E0C033E
	s_mov_b64 s[60:61], 0                                      // 00000000A584: BEBC0180
	v_readlane_b32 s82, v3, 20                                 // 00000000A588: D2890052 00012903
	s_and_b32 s82, s82, 0xffffff                               // 00000000A590: 8652FF52 00FFFFFF
	s_cmp_lt_u32 s82, s66                                      // 00000000A598: BF0A4252
	s_cselect_b32 s20, s36, s60                                // 00000000A59C: 85143C24
	v_readlane_b32 s82, v3, 21                                 // 00000000A5A0: D2890052 00012B03
	s_and_b32 s82, s82, 0xffffff                               // 00000000A5A8: 8652FF52 00FFFFFF
	s_cmp_lt_u32 s82, s66                                      // 00000000A5B0: BF0A4252
	s_cselect_b32 s21, s36, s60                                // 00000000A5B4: 85153C24
	s_mov_b64 exec, s[20:21]                                   // 00000000A5B8: BEFE0114
	buffer_store_dword v88, v6, s[8:11], 0 offen               // 00000000A5BC: E0701000 80025806
	buffer_store_dword v90, v6, s[8:11], 0 offen offset:128    // 00000000A5C4: E0701080 80025A06
	s_mov_b64 exec, s[36:37]                                   // 00000000A5CC: BEFE0124
	v_mov_b32_e32 v6, v63                                      // 00000000A5D0: 7E0C033F
	s_mov_b64 s[60:61], 0                                      // 00000000A5D4: BEBC0180
	v_readlane_b32 s82, v3, 22                                 // 00000000A5D8: D2890052 00012D03
	s_and_b32 s82, s82, 0xffffff                               // 00000000A5E0: 8652FF52 00FFFFFF
	s_cmp_lt_u32 s82, s66                                      // 00000000A5E8: BF0A4252
	s_cselect_b32 s20, s36, s60                                // 00000000A5EC: 85143C24
	v_readlane_b32 s82, v3, 23                                 // 00000000A5F0: D2890052 00012F03
	s_and_b32 s82, s82, 0xffffff                               // 00000000A5F8: 8652FF52 00FFFFFF
	s_cmp_lt_u32 s82, s66                                      // 00000000A600: BF0A4252
	s_cselect_b32 s21, s36, s60                                // 00000000A604: 85153C24
	s_mov_b64 exec, s[20:21]                                   // 00000000A608: BEFE0114
	buffer_store_dword v89, v6, s[8:11], 0 offen               // 00000000A60C: E0701000 80025906
	buffer_store_dword v91, v6, s[8:11], 0 offen offset:128    // 00000000A614: E0701080 80025B06
	s_mov_b64 exec, s[36:37]                                   // 00000000A61C: BEFE0124
	s_branch label_251E                                        // 00000000A620: BF820612

000000000000a624 <label_1F0C>:
	ds_write_b64 v20, v[68:69]                                 // 00000000A624: D89A0000 00004414
	ds_write_b64 v20, v[72:73] offset:4352                     // 00000000A62C: D89A1100 00004814
	ds_write_b64 v20, v[76:77] offset:8704                     // 00000000A634: D89A2200 00004C14
	ds_write_b64 v20, v[80:81] offset:13056                    // 00000000A63C: D89A3300 00005014
	ds_write_b64 v20, v[84:85] offset:17408                    // 00000000A644: D89A4400 00005414
	ds_write_b64 v20, v[88:89] offset:21760                    // 00000000A64C: D89A5500 00005814
	ds_write_b64 v20, v[92:93] offset:2176                     // 00000000A654: D89A0880 00005C14
	ds_write_b64 v20, v[96:97] offset:6528                     // 00000000A65C: D89A1980 00006014
	ds_write_b64 v20, v[100:101] offset:10880                  // 00000000A664: D89A2A80 00006414
	ds_write_b64 v20, v[104:105] offset:15232                  // 00000000A66C: D89A3B80 00006814
	ds_write_b64 v20, v[108:109] offset:19584                  // 00000000A674: D89A4C80 00006C14
	ds_write_b64 v20, v[112:113] offset:23936                  // 00000000A67C: D89A5D80 00007014
	v_lshrrev_b32_e32 v4, 5, v0                                // 00000000A684: 20080085
	v_xor_b32_e32 v5, 1, v4                                    // 00000000A688: 2A0A0881
	s_mul_i32 s60, s65, 2                                      // 00000000A68C: 923C8241
	s_cmp_eq_u32 s88, 0                                        // 00000000A690: BF068058
	s_cselect_b32 s61, 1, 4                                    // 00000000A694: 853D8481
	s_mul_i32 s60, s61, s60                                    // 00000000A698: 923C3C3D
	v_readlane_b32 s82, v3, 0                                  // 00000000A69C: D2890052 00010103
	s_lshr_b32 s61, s82, 24                                    // 00000000A6A4: 8F3D9852
	s_and_b32 s82, s82, 0xffffff                               // 00000000A6A8: 8652FF52 00FFFFFF
	s_mul_i32 s82, s82, s71                                    // 00000000A6B0: 92524752
	s_mul_i32 s61, s60, s61                                    // 00000000A6B4: 923D3D3C
	s_add_u32 s82, s82, s61                                    // 00000000A6B8: 80523D52
	v_mul_lo_u32 v6, v5, s82                                   // 00000000A6BC: D2850006 0000A505
	v_readlane_b32 s82, v3, 1                                  // 00000000A6C4: D2890052 00010303
	s_lshr_b32 s61, s82, 24                                    // 00000000A6CC: 8F3D9852
	s_and_b32 s82, s82, 0xffffff                               // 00000000A6D0: 8652FF52 00FFFFFF
	s_mul_i32 s82, s82, s71                                    // 00000000A6D8: 92524752
	s_mul_i32 s61, s60, s61                                    // 00000000A6DC: 923D3D3C
	s_add_u32 s82, s82, s61                                    // 00000000A6E0: 80523D52
	v_mul_lo_u32 v7, v4, s82                                   // 00000000A6E4: D2850007 0000A504
	v_add_u32_e32 v52, v6, v7                                  // 00000000A6EC: 68680F06
	v_readlane_b32 s82, v3, 2                                  // 00000000A6F0: D2890052 00010503
	s_lshr_b32 s61, s82, 24                                    // 00000000A6F8: 8F3D9852
	s_and_b32 s82, s82, 0xffffff                               // 00000000A6FC: 8652FF52 00FFFFFF
	s_mul_i32 s82, s82, s71                                    // 00000000A704: 92524752
	s_mul_i32 s61, s60, s61                                    // 00000000A708: 923D3D3C
	s_add_u32 s82, s82, s61                                    // 00000000A70C: 80523D52
	v_mul_lo_u32 v6, v5, s82                                   // 00000000A710: D2850006 0000A505
	v_readlane_b32 s82, v3, 3                                  // 00000000A718: D2890052 00010703
	s_lshr_b32 s61, s82, 24                                    // 00000000A720: 8F3D9852
	s_and_b32 s82, s82, 0xffffff                               // 00000000A724: 8652FF52 00FFFFFF
	s_mul_i32 s82, s82, s71                                    // 00000000A72C: 92524752
	s_mul_i32 s61, s60, s61                                    // 00000000A730: 923D3D3C
	s_add_u32 s82, s82, s61                                    // 00000000A734: 80523D52
	v_mul_lo_u32 v7, v4, s82                                   // 00000000A738: D2850007 0000A504
	v_add_u32_e32 v53, v6, v7                                  // 00000000A740: 686A0F06
	v_readlane_b32 s82, v3, 4                                  // 00000000A744: D2890052 00010903
	s_lshr_b32 s61, s82, 24                                    // 00000000A74C: 8F3D9852
	s_and_b32 s82, s82, 0xffffff                               // 00000000A750: 8652FF52 00FFFFFF
	s_mul_i32 s82, s82, s71                                    // 00000000A758: 92524752
	s_mul_i32 s61, s60, s61                                    // 00000000A75C: 923D3D3C
	s_add_u32 s82, s82, s61                                    // 00000000A760: 80523D52
	v_mul_lo_u32 v6, v5, s82                                   // 00000000A764: D2850006 0000A505
	v_readlane_b32 s82, v3, 5                                  // 00000000A76C: D2890052 00010B03
	s_lshr_b32 s61, s82, 24                                    // 00000000A774: 8F3D9852
	s_and_b32 s82, s82, 0xffffff                               // 00000000A778: 8652FF52 00FFFFFF
	s_mul_i32 s82, s82, s71                                    // 00000000A780: 92524752
	s_mul_i32 s61, s60, s61                                    // 00000000A784: 923D3D3C
	s_add_u32 s82, s82, s61                                    // 00000000A788: 80523D52
	v_mul_lo_u32 v7, v4, s82                                   // 00000000A78C: D2850007 0000A504
	v_add_u32_e32 v54, v6, v7                                  // 00000000A794: 686C0F06
	v_readlane_b32 s82, v3, 6                                  // 00000000A798: D2890052 00010D03
	s_lshr_b32 s61, s82, 24                                    // 00000000A7A0: 8F3D9852
	s_and_b32 s82, s82, 0xffffff                               // 00000000A7A4: 8652FF52 00FFFFFF
	s_mul_i32 s82, s82, s71                                    // 00000000A7AC: 92524752
	s_mul_i32 s61, s60, s61                                    // 00000000A7B0: 923D3D3C
	s_add_u32 s82, s82, s61                                    // 00000000A7B4: 80523D52
	v_mul_lo_u32 v6, v5, s82                                   // 00000000A7B8: D2850006 0000A505
	v_readlane_b32 s82, v3, 7                                  // 00000000A7C0: D2890052 00010F03
	s_lshr_b32 s61, s82, 24                                    // 00000000A7C8: 8F3D9852
	s_and_b32 s82, s82, 0xffffff                               // 00000000A7CC: 8652FF52 00FFFFFF
	s_mul_i32 s82, s82, s71                                    // 00000000A7D4: 92524752
	s_mul_i32 s61, s60, s61                                    // 00000000A7D8: 923D3D3C
	s_add_u32 s82, s82, s61                                    // 00000000A7DC: 80523D52
	v_mul_lo_u32 v7, v4, s82                                   // 00000000A7E0: D2850007 0000A504
	v_add_u32_e32 v55, v6, v7                                  // 00000000A7E8: 686E0F06
	v_readlane_b32 s82, v3, 8                                  // 00000000A7EC: D2890052 00011103
	s_lshr_b32 s61, s82, 24                                    // 00000000A7F4: 8F3D9852
	s_and_b32 s82, s82, 0xffffff                               // 00000000A7F8: 8652FF52 00FFFFFF
	s_mul_i32 s82, s82, s71                                    // 00000000A800: 92524752
	s_mul_i32 s61, s60, s61                                    // 00000000A804: 923D3D3C
	s_add_u32 s82, s82, s61                                    // 00000000A808: 80523D52
	v_mul_lo_u32 v6, v5, s82                                   // 00000000A80C: D2850006 0000A505
	v_readlane_b32 s82, v3, 9                                  // 00000000A814: D2890052 00011303
	s_lshr_b32 s61, s82, 24                                    // 00000000A81C: 8F3D9852
	s_and_b32 s82, s82, 0xffffff                               // 00000000A820: 8652FF52 00FFFFFF
	s_mul_i32 s82, s82, s71                                    // 00000000A828: 92524752
	s_mul_i32 s61, s60, s61                                    // 00000000A82C: 923D3D3C
	s_add_u32 s82, s82, s61                                    // 00000000A830: 80523D52
	v_mul_lo_u32 v7, v4, s82                                   // 00000000A834: D2850007 0000A504
	v_add_u32_e32 v56, v6, v7                                  // 00000000A83C: 68700F06
	v_readlane_b32 s82, v3, 10                                 // 00000000A840: D2890052 00011503
	s_lshr_b32 s61, s82, 24                                    // 00000000A848: 8F3D9852
	s_and_b32 s82, s82, 0xffffff                               // 00000000A84C: 8652FF52 00FFFFFF
	s_mul_i32 s82, s82, s71                                    // 00000000A854: 92524752
	s_mul_i32 s61, s60, s61                                    // 00000000A858: 923D3D3C
	s_add_u32 s82, s82, s61                                    // 00000000A85C: 80523D52
	v_mul_lo_u32 v6, v5, s82                                   // 00000000A860: D2850006 0000A505
	v_readlane_b32 s82, v3, 11                                 // 00000000A868: D2890052 00011703
	s_lshr_b32 s61, s82, 24                                    // 00000000A870: 8F3D9852
	s_and_b32 s82, s82, 0xffffff                               // 00000000A874: 8652FF52 00FFFFFF
	s_mul_i32 s82, s82, s71                                    // 00000000A87C: 92524752
	s_mul_i32 s61, s60, s61                                    // 00000000A880: 923D3D3C
	s_add_u32 s82, s82, s61                                    // 00000000A884: 80523D52
	v_mul_lo_u32 v7, v4, s82                                   // 00000000A888: D2850007 0000A504
	v_add_u32_e32 v57, v6, v7                                  // 00000000A890: 68720F06
	v_readlane_b32 s82, v3, 12                                 // 00000000A894: D2890052 00011903
	s_lshr_b32 s61, s82, 24                                    // 00000000A89C: 8F3D9852
	s_and_b32 s82, s82, 0xffffff                               // 00000000A8A0: 8652FF52 00FFFFFF
	s_mul_i32 s82, s82, s71                                    // 00000000A8A8: 92524752
	s_mul_i32 s61, s60, s61                                    // 00000000A8AC: 923D3D3C
	s_add_u32 s82, s82, s61                                    // 00000000A8B0: 80523D52
	v_mul_lo_u32 v6, v5, s82                                   // 00000000A8B4: D2850006 0000A505
	v_readlane_b32 s82, v3, 13                                 // 00000000A8BC: D2890052 00011B03
	s_lshr_b32 s61, s82, 24                                    // 00000000A8C4: 8F3D9852
	s_and_b32 s82, s82, 0xffffff                               // 00000000A8C8: 8652FF52 00FFFFFF
	s_mul_i32 s82, s82, s71                                    // 00000000A8D0: 92524752
	s_mul_i32 s61, s60, s61                                    // 00000000A8D4: 923D3D3C
	s_add_u32 s82, s82, s61                                    // 00000000A8D8: 80523D52
	v_mul_lo_u32 v7, v4, s82                                   // 00000000A8DC: D2850007 0000A504
	v_add_u32_e32 v58, v6, v7                                  // 00000000A8E4: 68740F06
	v_readlane_b32 s82, v3, 14                                 // 00000000A8E8: D2890052 00011D03
	s_lshr_b32 s61, s82, 24                                    // 00000000A8F0: 8F3D9852
	s_and_b32 s82, s82, 0xffffff                               // 00000000A8F4: 8652FF52 00FFFFFF
	s_mul_i32 s82, s82, s71                                    // 00000000A8FC: 92524752
	s_mul_i32 s61, s60, s61                                    // 00000000A900: 923D3D3C
	s_add_u32 s82, s82, s61                                    // 00000000A904: 80523D52
	v_mul_lo_u32 v6, v5, s82                                   // 00000000A908: D2850006 0000A505
	v_readlane_b32 s82, v3, 15                                 // 00000000A910: D2890052 00011F03
	s_lshr_b32 s61, s82, 24                                    // 00000000A918: 8F3D9852
	s_and_b32 s82, s82, 0xffffff                               // 00000000A91C: 8652FF52 00FFFFFF
	s_mul_i32 s82, s82, s71                                    // 00000000A924: 92524752
	s_mul_i32 s61, s60, s61                                    // 00000000A928: 923D3D3C
	s_add_u32 s82, s82, s61                                    // 00000000A92C: 80523D52
	v_mul_lo_u32 v7, v4, s82                                   // 00000000A930: D2850007 0000A504
	v_add_u32_e32 v59, v6, v7                                  // 00000000A938: 68760F06
	v_readlane_b32 s82, v3, 16                                 // 00000000A93C: D2890052 00012103
	s_lshr_b32 s61, s82, 24                                    // 00000000A944: 8F3D9852
	s_and_b32 s82, s82, 0xffffff                               // 00000000A948: 8652FF52 00FFFFFF
	s_mul_i32 s82, s82, s71                                    // 00000000A950: 92524752
	s_mul_i32 s61, s60, s61                                    // 00000000A954: 923D3D3C
	s_add_u32 s82, s82, s61                                    // 00000000A958: 80523D52
	v_mul_lo_u32 v6, v5, s82                                   // 00000000A95C: D2850006 0000A505
	v_readlane_b32 s82, v3, 17                                 // 00000000A964: D2890052 00012303
	s_lshr_b32 s61, s82, 24                                    // 00000000A96C: 8F3D9852
	s_and_b32 s82, s82, 0xffffff                               // 00000000A970: 8652FF52 00FFFFFF
	s_mul_i32 s82, s82, s71                                    // 00000000A978: 92524752
	s_mul_i32 s61, s60, s61                                    // 00000000A97C: 923D3D3C
	s_add_u32 s82, s82, s61                                    // 00000000A980: 80523D52
	v_mul_lo_u32 v7, v4, s82                                   // 00000000A984: D2850007 0000A504
	v_add_u32_e32 v60, v6, v7                                  // 00000000A98C: 68780F06
	v_readlane_b32 s82, v3, 18                                 // 00000000A990: D2890052 00012503
	s_lshr_b32 s61, s82, 24                                    // 00000000A998: 8F3D9852
	s_and_b32 s82, s82, 0xffffff                               // 00000000A99C: 8652FF52 00FFFFFF
	s_mul_i32 s82, s82, s71                                    // 00000000A9A4: 92524752
	s_mul_i32 s61, s60, s61                                    // 00000000A9A8: 923D3D3C
	s_add_u32 s82, s82, s61                                    // 00000000A9AC: 80523D52
	v_mul_lo_u32 v6, v5, s82                                   // 00000000A9B0: D2850006 0000A505
	v_readlane_b32 s82, v3, 19                                 // 00000000A9B8: D2890052 00012703
	s_lshr_b32 s61, s82, 24                                    // 00000000A9C0: 8F3D9852
	s_and_b32 s82, s82, 0xffffff                               // 00000000A9C4: 8652FF52 00FFFFFF
	s_mul_i32 s82, s82, s71                                    // 00000000A9CC: 92524752
	s_mul_i32 s61, s60, s61                                    // 00000000A9D0: 923D3D3C
	s_add_u32 s82, s82, s61                                    // 00000000A9D4: 80523D52
	v_mul_lo_u32 v7, v4, s82                                   // 00000000A9D8: D2850007 0000A504
	v_add_u32_e32 v61, v6, v7                                  // 00000000A9E0: 687A0F06
	v_readlane_b32 s82, v3, 20                                 // 00000000A9E4: D2890052 00012903
	s_lshr_b32 s61, s82, 24                                    // 00000000A9EC: 8F3D9852
	s_and_b32 s82, s82, 0xffffff                               // 00000000A9F0: 8652FF52 00FFFFFF
	s_mul_i32 s82, s82, s71                                    // 00000000A9F8: 92524752
	s_mul_i32 s61, s60, s61                                    // 00000000A9FC: 923D3D3C
	s_add_u32 s82, s82, s61                                    // 00000000AA00: 80523D52
	v_mul_lo_u32 v6, v5, s82                                   // 00000000AA04: D2850006 0000A505
	v_readlane_b32 s82, v3, 21                                 // 00000000AA0C: D2890052 00012B03
	s_lshr_b32 s61, s82, 24                                    // 00000000AA14: 8F3D9852
	s_and_b32 s82, s82, 0xffffff                               // 00000000AA18: 8652FF52 00FFFFFF
	s_mul_i32 s82, s82, s71                                    // 00000000AA20: 92524752
	s_mul_i32 s61, s60, s61                                    // 00000000AA24: 923D3D3C
	s_add_u32 s82, s82, s61                                    // 00000000AA28: 80523D52
	v_mul_lo_u32 v7, v4, s82                                   // 00000000AA2C: D2850007 0000A504
	v_add_u32_e32 v62, v6, v7                                  // 00000000AA34: 687C0F06
	v_readlane_b32 s82, v3, 22                                 // 00000000AA38: D2890052 00012D03
	s_lshr_b32 s61, s82, 24                                    // 00000000AA40: 8F3D9852
	s_and_b32 s82, s82, 0xffffff                               // 00000000AA44: 8652FF52 00FFFFFF
	s_mul_i32 s82, s82, s71                                    // 00000000AA4C: 92524752
	s_mul_i32 s61, s60, s61                                    // 00000000AA50: 923D3D3C
	s_add_u32 s82, s82, s61                                    // 00000000AA54: 80523D52
	v_mul_lo_u32 v6, v5, s82                                   // 00000000AA58: D2850006 0000A505
	v_readlane_b32 s82, v3, 23                                 // 00000000AA60: D2890052 00012F03
	s_lshr_b32 s61, s82, 24                                    // 00000000AA68: 8F3D9852
	s_and_b32 s82, s82, 0xffffff                               // 00000000AA6C: 8652FF52 00FFFFFF
	s_mul_i32 s82, s82, s71                                    // 00000000AA74: 92524752
	s_mul_i32 s61, s60, s61                                    // 00000000AA78: 923D3D3C
	s_add_u32 s82, s82, s61                                    // 00000000AA7C: 80523D52
	v_mul_lo_u32 v7, v4, s82                                   // 00000000AA80: D2850007 0000A504
	v_add_u32_e32 v63, v6, v7                                  // 00000000AA88: 687E0F06
	v_and_b32_e32 v4, 31, v0                                   // 00000000AA8C: 2608009F
	v_lshrrev_b32_e32 v4, 1, v4                                // 00000000AA90: 20080881
	s_cmp_eq_u32 s88, 0                                        // 00000000AA94: BF068058
	s_cselect_b32 s61, 2, 4                                    // 00000000AA98: 853D8482
	v_mul_lo_u32 v4, v4, s61                                   // 00000000AA9C: D2850004 00007B04
	v_and_b32_e64 v5, v0, 1                                    // 00000000AAA4: D1130005 00010300
	v_add_u32_e32 v4, v4, v5                                   // 00000000AAAC: 68080B04
	v_lshlrev_b32_e32 v4, 2, v4                                // 00000000AAB0: 24080882
	v_add_u32_e32 v52, v52, v4                                 // 00000000AAB4: 68680934
	v_add_u32_e32 v53, v53, v4                                 // 00000000AAB8: 686A0935
	v_add_u32_e32 v54, v54, v4                                 // 00000000AABC: 686C0936
	v_add_u32_e32 v55, v55, v4                                 // 00000000AAC0: 686E0937
	v_add_u32_e32 v56, v56, v4                                 // 00000000AAC4: 68700938
	v_add_u32_e32 v57, v57, v4                                 // 00000000AAC8: 68720939
	v_add_u32_e32 v58, v58, v4                                 // 00000000AACC: 6874093A
	v_add_u32_e32 v59, v59, v4                                 // 00000000AAD0: 6876093B
	v_add_u32_e32 v60, v60, v4                                 // 00000000AAD4: 6878093C
	v_add_u32_e32 v61, v61, v4                                 // 00000000AAD8: 687A093D
	v_add_u32_e32 v62, v62, v4                                 // 00000000AADC: 687C093E
	v_add_u32_e32 v63, v63, v4                                 // 00000000AAE0: 687E093F
	s_waitcnt lgkmcnt(0)                                       // 00000000AAE4: BF8CC07F
	s_barrier                                                  // 00000000AAE8: BF8A0000
	ds_read_b32 v68, v21                                       // 00000000AAEC: D86C0000 44000015
	ds_read_b32 v69, v21 offset:64                             // 00000000AAF4: D86C0040 45000015
	ds_read_b32 v72, v21 offset:2176                           // 00000000AAFC: D86C0880 48000015
	ds_read_b32 v73, v21 offset:2240                           // 00000000AB04: D86C08C0 49000015
	ds_read_b32 v76, v21 offset:4352                           // 00000000AB0C: D86C1100 4C000015
	ds_read_b32 v77, v21 offset:4416                           // 00000000AB14: D86C1140 4D000015
	ds_read_b32 v80, v21 offset:6528                           // 00000000AB1C: D86C1980 50000015
	ds_read_b32 v81, v21 offset:6592                           // 00000000AB24: D86C19C0 51000015
	ds_read_b32 v84, v21 offset:8704                           // 00000000AB2C: D86C2200 54000015
	ds_read_b32 v85, v21 offset:8768                           // 00000000AB34: D86C2240 55000015
	ds_read_b32 v88, v21 offset:10880                          // 00000000AB3C: D86C2A80 58000015
	ds_read_b32 v89, v21 offset:10944                          // 00000000AB44: D86C2AC0 59000015
	ds_read_b32 v92, v21 offset:13056                          // 00000000AB4C: D86C3300 5C000015
	ds_read_b32 v93, v21 offset:13120                          // 00000000AB54: D86C3340 5D000015
	ds_read_b32 v96, v21 offset:15232                          // 00000000AB5C: D86C3B80 60000015
	ds_read_b32 v97, v21 offset:15296                          // 00000000AB64: D86C3BC0 61000015
	ds_read_b32 v100, v21 offset:17408                         // 00000000AB6C: D86C4400 64000015
	ds_read_b32 v101, v21 offset:17472                         // 00000000AB74: D86C4440 65000015
	ds_read_b32 v104, v21 offset:19584                         // 00000000AB7C: D86C4C80 68000015
	ds_read_b32 v105, v21 offset:19648                         // 00000000AB84: D86C4CC0 69000015
	ds_read_b32 v108, v21 offset:21760                         // 00000000AB8C: D86C5500 6C000015
	ds_read_b32 v109, v21 offset:21824                         // 00000000AB94: D86C5540 6D000015
	ds_read_b32 v112, v21 offset:23936                         // 00000000AB9C: D86C5D80 70000015
	ds_read_b32 v113, v21 offset:24000                         // 00000000ABA4: D86C5DC0 71000015
	s_waitcnt lgkmcnt(0)                                       // 00000000ABAC: BF8CC07F
	s_mov_b32 s36, -1                                          // 00000000ABB0: BEA400C1
	s_mov_b32 s37, -1                                          // 00000000ABB4: BEA500C1
	v_mov_b32_e32 v7, 0                                        // 00000000ABB8: 7E0E0280
	s_mov_b64 exec, s[36:37]                                   // 00000000ABBC: BEFE0124
	v_mov_b32_e32 v6, v52                                      // 00000000ABC0: 7E0C0334
	s_mov_b64 s[60:61], 0                                      // 00000000ABC4: BEBC0180
	v_readlane_b32 s82, v3, 0                                  // 00000000ABC8: D2890052 00010103
	s_and_b32 s82, s82, 0xffffff                               // 00000000ABD0: 8652FF52 00FFFFFF
	s_cmp_lt_u32 s82, s66                                      // 00000000ABD8: BF0A4252
	s_cselect_b32 s20, s36, s60                                // 00000000ABDC: 85143C24
	v_readlane_b32 s82, v3, 1                                  // 00000000ABE0: D2890052 00010303
	s_and_b32 s82, s82, 0xffffff                               // 00000000ABE8: 8652FF52 00FFFFFF
	s_cmp_lt_u32 s82, s66                                      // 00000000ABF0: BF0A4252
	s_cselect_b32 s21, s36, s60                                // 00000000ABF4: 85153C24
	s_mov_b64 exec, s[20:21]                                   // 00000000ABF8: BEFE0114
	global_atomic_add_f32 v6, v68, s[8:9]                      // 00000000ABFC: DD348000 00084406
	global_atomic_add_f32 v6, v72, s[8:9] offset:256           // 00000000AC04: DD348100 00084806
	s_mov_b64 exec, s[36:37]                                   // 00000000AC0C: BEFE0124
	v_mov_b32_e32 v6, v53                                      // 00000000AC10: 7E0C0335
	s_mov_b64 s[60:61], 0                                      // 00000000AC14: BEBC0180
	v_readlane_b32 s82, v3, 2                                  // 00000000AC18: D2890052 00010503
	s_and_b32 s82, s82, 0xffffff                               // 00000000AC20: 8652FF52 00FFFFFF
	s_cmp_lt_u32 s82, s66                                      // 00000000AC28: BF0A4252
	s_cselect_b32 s20, s36, s60                                // 00000000AC2C: 85143C24
	v_readlane_b32 s82, v3, 3                                  // 00000000AC30: D2890052 00010703
	s_and_b32 s82, s82, 0xffffff                               // 00000000AC38: 8652FF52 00FFFFFF
	s_cmp_lt_u32 s82, s66                                      // 00000000AC40: BF0A4252
	s_cselect_b32 s21, s36, s60                                // 00000000AC44: 85153C24
	s_mov_b64 exec, s[20:21]                                   // 00000000AC48: BEFE0114
	global_atomic_add_f32 v6, v69, s[8:9]                      // 00000000AC4C: DD348000 00084506
	global_atomic_add_f32 v6, v73, s[8:9] offset:256           // 00000000AC54: DD348100 00084906
	s_mov_b64 exec, s[36:37]                                   // 00000000AC5C: BEFE0124
	v_mov_b32_e32 v6, v54                                      // 00000000AC60: 7E0C0336
	s_mov_b64 s[60:61], 0                                      // 00000000AC64: BEBC0180
	v_readlane_b32 s82, v3, 4                                  // 00000000AC68: D2890052 00010903
	s_and_b32 s82, s82, 0xffffff                               // 00000000AC70: 8652FF52 00FFFFFF
	s_cmp_lt_u32 s82, s66                                      // 00000000AC78: BF0A4252
	s_cselect_b32 s20, s36, s60                                // 00000000AC7C: 85143C24
	v_readlane_b32 s82, v3, 5                                  // 00000000AC80: D2890052 00010B03
	s_and_b32 s82, s82, 0xffffff                               // 00000000AC88: 8652FF52 00FFFFFF
	s_cmp_lt_u32 s82, s66                                      // 00000000AC90: BF0A4252
	s_cselect_b32 s21, s36, s60                                // 00000000AC94: 85153C24
	s_mov_b64 exec, s[20:21]                                   // 00000000AC98: BEFE0114
	global_atomic_add_f32 v6, v76, s[8:9]                      // 00000000AC9C: DD348000 00084C06
	global_atomic_add_f32 v6, v80, s[8:9] offset:256           // 00000000ACA4: DD348100 00085006
	s_mov_b64 exec, s[36:37]                                   // 00000000ACAC: BEFE0124
	v_mov_b32_e32 v6, v55                                      // 00000000ACB0: 7E0C0337
	s_mov_b64 s[60:61], 0                                      // 00000000ACB4: BEBC0180
	v_readlane_b32 s82, v3, 6                                  // 00000000ACB8: D2890052 00010D03
	s_and_b32 s82, s82, 0xffffff                               // 00000000ACC0: 8652FF52 00FFFFFF
	s_cmp_lt_u32 s82, s66                                      // 00000000ACC8: BF0A4252
	s_cselect_b32 s20, s36, s60                                // 00000000ACCC: 85143C24
	v_readlane_b32 s82, v3, 7                                  // 00000000ACD0: D2890052 00010F03
	s_and_b32 s82, s82, 0xffffff                               // 00000000ACD8: 8652FF52 00FFFFFF
	s_cmp_lt_u32 s82, s66                                      // 00000000ACE0: BF0A4252
	s_cselect_b32 s21, s36, s60                                // 00000000ACE4: 85153C24
	s_mov_b64 exec, s[20:21]                                   // 00000000ACE8: BEFE0114
	global_atomic_add_f32 v6, v77, s[8:9]                      // 00000000ACEC: DD348000 00084D06
	global_atomic_add_f32 v6, v81, s[8:9] offset:256           // 00000000ACF4: DD348100 00085106
	s_mov_b64 exec, s[36:37]                                   // 00000000ACFC: BEFE0124
	v_mov_b32_e32 v6, v56                                      // 00000000AD00: 7E0C0338
	s_mov_b64 s[60:61], 0                                      // 00000000AD04: BEBC0180
	v_readlane_b32 s82, v3, 8                                  // 00000000AD08: D2890052 00011103
	s_and_b32 s82, s82, 0xffffff                               // 00000000AD10: 8652FF52 00FFFFFF
	s_cmp_lt_u32 s82, s66                                      // 00000000AD18: BF0A4252
	s_cselect_b32 s20, s36, s60                                // 00000000AD1C: 85143C24
	v_readlane_b32 s82, v3, 9                                  // 00000000AD20: D2890052 00011303
	s_and_b32 s82, s82, 0xffffff                               // 00000000AD28: 8652FF52 00FFFFFF
	s_cmp_lt_u32 s82, s66                                      // 00000000AD30: BF0A4252
	s_cselect_b32 s21, s36, s60                                // 00000000AD34: 85153C24
	s_mov_b64 exec, s[20:21]                                   // 00000000AD38: BEFE0114
	global_atomic_add_f32 v6, v84, s[8:9]                      // 00000000AD3C: DD348000 00085406
	global_atomic_add_f32 v6, v88, s[8:9] offset:256           // 00000000AD44: DD348100 00085806
	s_mov_b64 exec, s[36:37]                                   // 00000000AD4C: BEFE0124
	v_mov_b32_e32 v6, v57                                      // 00000000AD50: 7E0C0339
	s_mov_b64 s[60:61], 0                                      // 00000000AD54: BEBC0180
	v_readlane_b32 s82, v3, 10                                 // 00000000AD58: D2890052 00011503
	s_and_b32 s82, s82, 0xffffff                               // 00000000AD60: 8652FF52 00FFFFFF
	s_cmp_lt_u32 s82, s66                                      // 00000000AD68: BF0A4252
	s_cselect_b32 s20, s36, s60                                // 00000000AD6C: 85143C24
	v_readlane_b32 s82, v3, 11                                 // 00000000AD70: D2890052 00011703
	s_and_b32 s82, s82, 0xffffff                               // 00000000AD78: 8652FF52 00FFFFFF
	s_cmp_lt_u32 s82, s66                                      // 00000000AD80: BF0A4252
	s_cselect_b32 s21, s36, s60                                // 00000000AD84: 85153C24
	s_mov_b64 exec, s[20:21]                                   // 00000000AD88: BEFE0114
	global_atomic_add_f32 v6, v85, s[8:9]                      // 00000000AD8C: DD348000 00085506
	global_atomic_add_f32 v6, v89, s[8:9] offset:256           // 00000000AD94: DD348100 00085906
	s_mov_b64 exec, s[36:37]                                   // 00000000AD9C: BEFE0124
	v_mov_b32_e32 v6, v58                                      // 00000000ADA0: 7E0C033A
	s_mov_b64 s[60:61], 0                                      // 00000000ADA4: BEBC0180
	v_readlane_b32 s82, v3, 12                                 // 00000000ADA8: D2890052 00011903
	s_and_b32 s82, s82, 0xffffff                               // 00000000ADB0: 8652FF52 00FFFFFF
	s_cmp_lt_u32 s82, s66                                      // 00000000ADB8: BF0A4252
	s_cselect_b32 s20, s36, s60                                // 00000000ADBC: 85143C24
	v_readlane_b32 s82, v3, 13                                 // 00000000ADC0: D2890052 00011B03
	s_and_b32 s82, s82, 0xffffff                               // 00000000ADC8: 8652FF52 00FFFFFF
	s_cmp_lt_u32 s82, s66                                      // 00000000ADD0: BF0A4252
	s_cselect_b32 s21, s36, s60                                // 00000000ADD4: 85153C24
	s_mov_b64 exec, s[20:21]                                   // 00000000ADD8: BEFE0114
	global_atomic_add_f32 v6, v92, s[8:9]                      // 00000000ADDC: DD348000 00085C06
	global_atomic_add_f32 v6, v96, s[8:9] offset:256           // 00000000ADE4: DD348100 00086006
	s_mov_b64 exec, s[36:37]                                   // 00000000ADEC: BEFE0124
	v_mov_b32_e32 v6, v59                                      // 00000000ADF0: 7E0C033B
	s_mov_b64 s[60:61], 0                                      // 00000000ADF4: BEBC0180
	v_readlane_b32 s82, v3, 14                                 // 00000000ADF8: D2890052 00011D03
	s_and_b32 s82, s82, 0xffffff                               // 00000000AE00: 8652FF52 00FFFFFF
	s_cmp_lt_u32 s82, s66                                      // 00000000AE08: BF0A4252
	s_cselect_b32 s20, s36, s60                                // 00000000AE0C: 85143C24
	v_readlane_b32 s82, v3, 15                                 // 00000000AE10: D2890052 00011F03
	s_and_b32 s82, s82, 0xffffff                               // 00000000AE18: 8652FF52 00FFFFFF
	s_cmp_lt_u32 s82, s66                                      // 00000000AE20: BF0A4252
	s_cselect_b32 s21, s36, s60                                // 00000000AE24: 85153C24
	s_mov_b64 exec, s[20:21]                                   // 00000000AE28: BEFE0114
	global_atomic_add_f32 v6, v93, s[8:9]                      // 00000000AE2C: DD348000 00085D06
	global_atomic_add_f32 v6, v97, s[8:9] offset:256           // 00000000AE34: DD348100 00086106
	s_mov_b64 exec, s[36:37]                                   // 00000000AE3C: BEFE0124
	v_mov_b32_e32 v6, v60                                      // 00000000AE40: 7E0C033C
	s_mov_b64 s[60:61], 0                                      // 00000000AE44: BEBC0180
	v_readlane_b32 s82, v3, 16                                 // 00000000AE48: D2890052 00012103
	s_and_b32 s82, s82, 0xffffff                               // 00000000AE50: 8652FF52 00FFFFFF
	s_cmp_lt_u32 s82, s66                                      // 00000000AE58: BF0A4252
	s_cselect_b32 s20, s36, s60                                // 00000000AE5C: 85143C24
	v_readlane_b32 s82, v3, 17                                 // 00000000AE60: D2890052 00012303
	s_and_b32 s82, s82, 0xffffff                               // 00000000AE68: 8652FF52 00FFFFFF
	s_cmp_lt_u32 s82, s66                                      // 00000000AE70: BF0A4252
	s_cselect_b32 s21, s36, s60                                // 00000000AE74: 85153C24
	s_mov_b64 exec, s[20:21]                                   // 00000000AE78: BEFE0114
	global_atomic_add_f32 v6, v100, s[8:9]                     // 00000000AE7C: DD348000 00086406
	global_atomic_add_f32 v6, v104, s[8:9] offset:256          // 00000000AE84: DD348100 00086806
	s_mov_b64 exec, s[36:37]                                   // 00000000AE8C: BEFE0124
	v_mov_b32_e32 v6, v61                                      // 00000000AE90: 7E0C033D
	s_mov_b64 s[60:61], 0                                      // 00000000AE94: BEBC0180
	v_readlane_b32 s82, v3, 18                                 // 00000000AE98: D2890052 00012503
	s_and_b32 s82, s82, 0xffffff                               // 00000000AEA0: 8652FF52 00FFFFFF
	s_cmp_lt_u32 s82, s66                                      // 00000000AEA8: BF0A4252
	s_cselect_b32 s20, s36, s60                                // 00000000AEAC: 85143C24
	v_readlane_b32 s82, v3, 19                                 // 00000000AEB0: D2890052 00012703
	s_and_b32 s82, s82, 0xffffff                               // 00000000AEB8: 8652FF52 00FFFFFF
	s_cmp_lt_u32 s82, s66                                      // 00000000AEC0: BF0A4252
	s_cselect_b32 s21, s36, s60                                // 00000000AEC4: 85153C24
	s_mov_b64 exec, s[20:21]                                   // 00000000AEC8: BEFE0114
	global_atomic_add_f32 v6, v101, s[8:9]                     // 00000000AECC: DD348000 00086506
	global_atomic_add_f32 v6, v105, s[8:9] offset:256          // 00000000AED4: DD348100 00086906
	s_mov_b64 exec, s[36:37]                                   // 00000000AEDC: BEFE0124
	v_mov_b32_e32 v6, v62                                      // 00000000AEE0: 7E0C033E
	s_mov_b64 s[60:61], 0                                      // 00000000AEE4: BEBC0180
	v_readlane_b32 s82, v3, 20                                 // 00000000AEE8: D2890052 00012903
	s_and_b32 s82, s82, 0xffffff                               // 00000000AEF0: 8652FF52 00FFFFFF
	s_cmp_lt_u32 s82, s66                                      // 00000000AEF8: BF0A4252
	s_cselect_b32 s20, s36, s60                                // 00000000AEFC: 85143C24
	v_readlane_b32 s82, v3, 21                                 // 00000000AF00: D2890052 00012B03
	s_and_b32 s82, s82, 0xffffff                               // 00000000AF08: 8652FF52 00FFFFFF
	s_cmp_lt_u32 s82, s66                                      // 00000000AF10: BF0A4252
	s_cselect_b32 s21, s36, s60                                // 00000000AF14: 85153C24
	s_mov_b64 exec, s[20:21]                                   // 00000000AF18: BEFE0114
	global_atomic_add_f32 v6, v108, s[8:9]                     // 00000000AF1C: DD348000 00086C06
	global_atomic_add_f32 v6, v112, s[8:9] offset:256          // 00000000AF24: DD348100 00087006
	s_mov_b64 exec, s[36:37]                                   // 00000000AF2C: BEFE0124
	v_mov_b32_e32 v6, v63                                      // 00000000AF30: 7E0C033F
	s_mov_b64 s[60:61], 0                                      // 00000000AF34: BEBC0180
	v_readlane_b32 s82, v3, 22                                 // 00000000AF38: D2890052 00012D03
	s_and_b32 s82, s82, 0xffffff                               // 00000000AF40: 8652FF52 00FFFFFF
	s_cmp_lt_u32 s82, s66                                      // 00000000AF48: BF0A4252
	s_cselect_b32 s20, s36, s60                                // 00000000AF4C: 85143C24
	v_readlane_b32 s82, v3, 23                                 // 00000000AF50: D2890052 00012F03
	s_and_b32 s82, s82, 0xffffff                               // 00000000AF58: 8652FF52 00FFFFFF
	s_cmp_lt_u32 s82, s66                                      // 00000000AF60: BF0A4252
	s_cselect_b32 s21, s36, s60                                // 00000000AF64: 85153C24
	s_mov_b64 exec, s[20:21]                                   // 00000000AF68: BEFE0114
	global_atomic_add_f32 v6, v109, s[8:9]                     // 00000000AF6C: DD348000 00086D06
	global_atomic_add_f32 v6, v113, s[8:9] offset:256          // 00000000AF74: DD348100 00087106
	s_mov_b64 exec, s[36:37]                                   // 00000000AF7C: BEFE0124
	ds_write_b64 v20, v[70:71]                                 // 00000000AF80: D89A0000 00004614
	ds_write_b64 v20, v[74:75] offset:4352                     // 00000000AF88: D89A1100 00004A14
	ds_write_b64 v20, v[78:79] offset:8704                     // 00000000AF90: D89A2200 00004E14
	ds_write_b64 v20, v[82:83] offset:13056                    // 00000000AF98: D89A3300 00005214
	ds_write_b64 v20, v[86:87] offset:17408                    // 00000000AFA0: D89A4400 00005614
	ds_write_b64 v20, v[90:91] offset:21760                    // 00000000AFA8: D89A5500 00005A14
	ds_write_b64 v20, v[94:95] offset:2176                     // 00000000AFB0: D89A0880 00005E14
	ds_write_b64 v20, v[98:99] offset:6528                     // 00000000AFB8: D89A1980 00006214
	ds_write_b64 v20, v[102:103] offset:10880                  // 00000000AFC0: D89A2A80 00006614
	ds_write_b64 v20, v[106:107] offset:15232                  // 00000000AFC8: D89A3B80 00006A14
	ds_write_b64 v20, v[110:111] offset:19584                  // 00000000AFD0: D89A4C80 00006E14
	ds_write_b64 v20, v[114:115] offset:23936                  // 00000000AFD8: D89A5D80 00007214
	s_waitcnt lgkmcnt(0)                                       // 00000000AFE0: BF8CC07F
	s_barrier                                                  // 00000000AFE4: BF8A0000
	ds_read_b32 v70, v21                                       // 00000000AFE8: D86C0000 46000015
	ds_read_b32 v71, v21 offset:64                             // 00000000AFF0: D86C0040 47000015
	ds_read_b32 v74, v21 offset:2176                           // 00000000AFF8: D86C0880 4A000015
	ds_read_b32 v75, v21 offset:2240                           // 00000000B000: D86C08C0 4B000015
	ds_read_b32 v78, v21 offset:4352                           // 00000000B008: D86C1100 4E000015
	ds_read_b32 v79, v21 offset:4416                           // 00000000B010: D86C1140 4F000015
	ds_read_b32 v82, v21 offset:6528                           // 00000000B018: D86C1980 52000015
	ds_read_b32 v83, v21 offset:6592                           // 00000000B020: D86C19C0 53000015
	ds_read_b32 v86, v21 offset:8704                           // 00000000B028: D86C2200 56000015
	ds_read_b32 v87, v21 offset:8768                           // 00000000B030: D86C2240 57000015
	ds_read_b32 v90, v21 offset:10880                          // 00000000B038: D86C2A80 5A000015
	ds_read_b32 v91, v21 offset:10944                          // 00000000B040: D86C2AC0 5B000015
	ds_read_b32 v94, v21 offset:13056                          // 00000000B048: D86C3300 5E000015
	ds_read_b32 v95, v21 offset:13120                          // 00000000B050: D86C3340 5F000015
	ds_read_b32 v98, v21 offset:15232                          // 00000000B058: D86C3B80 62000015
	ds_read_b32 v99, v21 offset:15296                          // 00000000B060: D86C3BC0 63000015
	ds_read_b32 v102, v21 offset:17408                         // 00000000B068: D86C4400 66000015
	ds_read_b32 v103, v21 offset:17472                         // 00000000B070: D86C4440 67000015
	ds_read_b32 v106, v21 offset:19584                         // 00000000B078: D86C4C80 6A000015
	ds_read_b32 v107, v21 offset:19648                         // 00000000B080: D86C4CC0 6B000015
	ds_read_b32 v110, v21 offset:21760                         // 00000000B088: D86C5500 6E000015
	ds_read_b32 v111, v21 offset:21824                         // 00000000B090: D86C5540 6F000015
	ds_read_b32 v114, v21 offset:23936                         // 00000000B098: D86C5D80 72000015
	ds_read_b32 v115, v21 offset:24000                         // 00000000B0A0: D86C5DC0 73000015
	s_waitcnt lgkmcnt(0)                                       // 00000000B0A8: BF8CC07F
	v_mov_b32_e32 v7, 0                                        // 00000000B0AC: 7E0E0280
	s_mov_b64 exec, s[36:37]                                   // 00000000B0B0: BEFE0124
	v_mov_b32_e32 v6, v52                                      // 00000000B0B4: 7E0C0334
	s_mov_b64 s[60:61], 0                                      // 00000000B0B8: BEBC0180
	v_readlane_b32 s82, v3, 0                                  // 00000000B0BC: D2890052 00010103
	s_and_b32 s82, s82, 0xffffff                               // 00000000B0C4: 8652FF52 00FFFFFF
	s_cmp_lt_u32 s82, s66                                      // 00000000B0CC: BF0A4252
	s_cselect_b32 s20, s36, s60                                // 00000000B0D0: 85143C24
	v_readlane_b32 s82, v3, 1                                  // 00000000B0D4: D2890052 00010303
	s_and_b32 s82, s82, 0xffffff                               // 00000000B0DC: 8652FF52 00FFFFFF
	s_cmp_lt_u32 s82, s66                                      // 00000000B0E4: BF0A4252
	s_cselect_b32 s21, s36, s60                                // 00000000B0E8: 85153C24
	s_mov_b64 exec, s[20:21]                                   // 00000000B0EC: BEFE0114
	global_atomic_add_f32 v6, v70, s[8:9] offset:8             // 00000000B0F0: DD348008 00084606
	global_atomic_add_f32 v6, v74, s[8:9] offset:264           // 00000000B0F8: DD348108 00084A06
	s_mov_b64 exec, s[36:37]                                   // 00000000B100: BEFE0124
	v_mov_b32_e32 v6, v53                                      // 00000000B104: 7E0C0335
	s_mov_b64 s[60:61], 0                                      // 00000000B108: BEBC0180
	v_readlane_b32 s82, v3, 2                                  // 00000000B10C: D2890052 00010503
	s_and_b32 s82, s82, 0xffffff                               // 00000000B114: 8652FF52 00FFFFFF
	s_cmp_lt_u32 s82, s66                                      // 00000000B11C: BF0A4252
	s_cselect_b32 s20, s36, s60                                // 00000000B120: 85143C24
	v_readlane_b32 s82, v3, 3                                  // 00000000B124: D2890052 00010703
	s_and_b32 s82, s82, 0xffffff                               // 00000000B12C: 8652FF52 00FFFFFF
	s_cmp_lt_u32 s82, s66                                      // 00000000B134: BF0A4252
	s_cselect_b32 s21, s36, s60                                // 00000000B138: 85153C24
	s_mov_b64 exec, s[20:21]                                   // 00000000B13C: BEFE0114
	global_atomic_add_f32 v6, v71, s[8:9] offset:8             // 00000000B140: DD348008 00084706
	global_atomic_add_f32 v6, v75, s[8:9] offset:264           // 00000000B148: DD348108 00084B06
	s_mov_b64 exec, s[36:37]                                   // 00000000B150: BEFE0124
	v_mov_b32_e32 v6, v54                                      // 00000000B154: 7E0C0336
	s_mov_b64 s[60:61], 0                                      // 00000000B158: BEBC0180
	v_readlane_b32 s82, v3, 4                                  // 00000000B15C: D2890052 00010903
	s_and_b32 s82, s82, 0xffffff                               // 00000000B164: 8652FF52 00FFFFFF
	s_cmp_lt_u32 s82, s66                                      // 00000000B16C: BF0A4252
	s_cselect_b32 s20, s36, s60                                // 00000000B170: 85143C24
	v_readlane_b32 s82, v3, 5                                  // 00000000B174: D2890052 00010B03
	s_and_b32 s82, s82, 0xffffff                               // 00000000B17C: 8652FF52 00FFFFFF
	s_cmp_lt_u32 s82, s66                                      // 00000000B184: BF0A4252
	s_cselect_b32 s21, s36, s60                                // 00000000B188: 85153C24
	s_mov_b64 exec, s[20:21]                                   // 00000000B18C: BEFE0114
	global_atomic_add_f32 v6, v78, s[8:9] offset:8             // 00000000B190: DD348008 00084E06
	global_atomic_add_f32 v6, v82, s[8:9] offset:264           // 00000000B198: DD348108 00085206
	s_mov_b64 exec, s[36:37]                                   // 00000000B1A0: BEFE0124
	v_mov_b32_e32 v6, v55                                      // 00000000B1A4: 7E0C0337
	s_mov_b64 s[60:61], 0                                      // 00000000B1A8: BEBC0180
	v_readlane_b32 s82, v3, 6                                  // 00000000B1AC: D2890052 00010D03
	s_and_b32 s82, s82, 0xffffff                               // 00000000B1B4: 8652FF52 00FFFFFF
	s_cmp_lt_u32 s82, s66                                      // 00000000B1BC: BF0A4252
	s_cselect_b32 s20, s36, s60                                // 00000000B1C0: 85143C24
	v_readlane_b32 s82, v3, 7                                  // 00000000B1C4: D2890052 00010F03
	s_and_b32 s82, s82, 0xffffff                               // 00000000B1CC: 8652FF52 00FFFFFF
	s_cmp_lt_u32 s82, s66                                      // 00000000B1D4: BF0A4252
	s_cselect_b32 s21, s36, s60                                // 00000000B1D8: 85153C24
	s_mov_b64 exec, s[20:21]                                   // 00000000B1DC: BEFE0114
	global_atomic_add_f32 v6, v79, s[8:9] offset:8             // 00000000B1E0: DD348008 00084F06
	global_atomic_add_f32 v6, v83, s[8:9] offset:264           // 00000000B1E8: DD348108 00085306
	s_mov_b64 exec, s[36:37]                                   // 00000000B1F0: BEFE0124
	v_mov_b32_e32 v6, v56                                      // 00000000B1F4: 7E0C0338
	s_mov_b64 s[60:61], 0                                      // 00000000B1F8: BEBC0180
	v_readlane_b32 s82, v3, 8                                  // 00000000B1FC: D2890052 00011103
	s_and_b32 s82, s82, 0xffffff                               // 00000000B204: 8652FF52 00FFFFFF
	s_cmp_lt_u32 s82, s66                                      // 00000000B20C: BF0A4252
	s_cselect_b32 s20, s36, s60                                // 00000000B210: 85143C24
	v_readlane_b32 s82, v3, 9                                  // 00000000B214: D2890052 00011303
	s_and_b32 s82, s82, 0xffffff                               // 00000000B21C: 8652FF52 00FFFFFF
	s_cmp_lt_u32 s82, s66                                      // 00000000B224: BF0A4252
	s_cselect_b32 s21, s36, s60                                // 00000000B228: 85153C24
	s_mov_b64 exec, s[20:21]                                   // 00000000B22C: BEFE0114
	global_atomic_add_f32 v6, v86, s[8:9] offset:8             // 00000000B230: DD348008 00085606
	global_atomic_add_f32 v6, v90, s[8:9] offset:264           // 00000000B238: DD348108 00085A06
	s_mov_b64 exec, s[36:37]                                   // 00000000B240: BEFE0124
	v_mov_b32_e32 v6, v57                                      // 00000000B244: 7E0C0339
	s_mov_b64 s[60:61], 0                                      // 00000000B248: BEBC0180
	v_readlane_b32 s82, v3, 10                                 // 00000000B24C: D2890052 00011503
	s_and_b32 s82, s82, 0xffffff                               // 00000000B254: 8652FF52 00FFFFFF
	s_cmp_lt_u32 s82, s66                                      // 00000000B25C: BF0A4252
	s_cselect_b32 s20, s36, s60                                // 00000000B260: 85143C24
	v_readlane_b32 s82, v3, 11                                 // 00000000B264: D2890052 00011703
	s_and_b32 s82, s82, 0xffffff                               // 00000000B26C: 8652FF52 00FFFFFF
	s_cmp_lt_u32 s82, s66                                      // 00000000B274: BF0A4252
	s_cselect_b32 s21, s36, s60                                // 00000000B278: 85153C24
	s_mov_b64 exec, s[20:21]                                   // 00000000B27C: BEFE0114
	global_atomic_add_f32 v6, v87, s[8:9] offset:8             // 00000000B280: DD348008 00085706
	global_atomic_add_f32 v6, v91, s[8:9] offset:264           // 00000000B288: DD348108 00085B06
	s_mov_b64 exec, s[36:37]                                   // 00000000B290: BEFE0124
	v_mov_b32_e32 v6, v58                                      // 00000000B294: 7E0C033A
	s_mov_b64 s[60:61], 0                                      // 00000000B298: BEBC0180
	v_readlane_b32 s82, v3, 12                                 // 00000000B29C: D2890052 00011903
	s_and_b32 s82, s82, 0xffffff                               // 00000000B2A4: 8652FF52 00FFFFFF
	s_cmp_lt_u32 s82, s66                                      // 00000000B2AC: BF0A4252
	s_cselect_b32 s20, s36, s60                                // 00000000B2B0: 85143C24
	v_readlane_b32 s82, v3, 13                                 // 00000000B2B4: D2890052 00011B03
	s_and_b32 s82, s82, 0xffffff                               // 00000000B2BC: 8652FF52 00FFFFFF
	s_cmp_lt_u32 s82, s66                                      // 00000000B2C4: BF0A4252
	s_cselect_b32 s21, s36, s60                                // 00000000B2C8: 85153C24
	s_mov_b64 exec, s[20:21]                                   // 00000000B2CC: BEFE0114
	global_atomic_add_f32 v6, v94, s[8:9] offset:8             // 00000000B2D0: DD348008 00085E06
	global_atomic_add_f32 v6, v98, s[8:9] offset:264           // 00000000B2D8: DD348108 00086206
	s_mov_b64 exec, s[36:37]                                   // 00000000B2E0: BEFE0124
	v_mov_b32_e32 v6, v59                                      // 00000000B2E4: 7E0C033B
	s_mov_b64 s[60:61], 0                                      // 00000000B2E8: BEBC0180
	v_readlane_b32 s82, v3, 14                                 // 00000000B2EC: D2890052 00011D03
	s_and_b32 s82, s82, 0xffffff                               // 00000000B2F4: 8652FF52 00FFFFFF
	s_cmp_lt_u32 s82, s66                                      // 00000000B2FC: BF0A4252
	s_cselect_b32 s20, s36, s60                                // 00000000B300: 85143C24
	v_readlane_b32 s82, v3, 15                                 // 00000000B304: D2890052 00011F03
	s_and_b32 s82, s82, 0xffffff                               // 00000000B30C: 8652FF52 00FFFFFF
	s_cmp_lt_u32 s82, s66                                      // 00000000B314: BF0A4252
	s_cselect_b32 s21, s36, s60                                // 00000000B318: 85153C24
	s_mov_b64 exec, s[20:21]                                   // 00000000B31C: BEFE0114
	global_atomic_add_f32 v6, v95, s[8:9] offset:8             // 00000000B320: DD348008 00085F06
	global_atomic_add_f32 v6, v99, s[8:9] offset:264           // 00000000B328: DD348108 00086306
	s_mov_b64 exec, s[36:37]                                   // 00000000B330: BEFE0124
	v_mov_b32_e32 v6, v60                                      // 00000000B334: 7E0C033C
	s_mov_b64 s[60:61], 0                                      // 00000000B338: BEBC0180
	v_readlane_b32 s82, v3, 16                                 // 00000000B33C: D2890052 00012103
	s_and_b32 s82, s82, 0xffffff                               // 00000000B344: 8652FF52 00FFFFFF
	s_cmp_lt_u32 s82, s66                                      // 00000000B34C: BF0A4252
	s_cselect_b32 s20, s36, s60                                // 00000000B350: 85143C24
	v_readlane_b32 s82, v3, 17                                 // 00000000B354: D2890052 00012303
	s_and_b32 s82, s82, 0xffffff                               // 00000000B35C: 8652FF52 00FFFFFF
	s_cmp_lt_u32 s82, s66                                      // 00000000B364: BF0A4252
	s_cselect_b32 s21, s36, s60                                // 00000000B368: 85153C24
	s_mov_b64 exec, s[20:21]                                   // 00000000B36C: BEFE0114
	global_atomic_add_f32 v6, v102, s[8:9] offset:8            // 00000000B370: DD348008 00086606
	global_atomic_add_f32 v6, v106, s[8:9] offset:264          // 00000000B378: DD348108 00086A06
	s_mov_b64 exec, s[36:37]                                   // 00000000B380: BEFE0124
	v_mov_b32_e32 v6, v61                                      // 00000000B384: 7E0C033D
	s_mov_b64 s[60:61], 0                                      // 00000000B388: BEBC0180
	v_readlane_b32 s82, v3, 18                                 // 00000000B38C: D2890052 00012503
	s_and_b32 s82, s82, 0xffffff                               // 00000000B394: 8652FF52 00FFFFFF
	s_cmp_lt_u32 s82, s66                                      // 00000000B39C: BF0A4252
	s_cselect_b32 s20, s36, s60                                // 00000000B3A0: 85143C24
	v_readlane_b32 s82, v3, 19                                 // 00000000B3A4: D2890052 00012703
	s_and_b32 s82, s82, 0xffffff                               // 00000000B3AC: 8652FF52 00FFFFFF
	s_cmp_lt_u32 s82, s66                                      // 00000000B3B4: BF0A4252
	s_cselect_b32 s21, s36, s60                                // 00000000B3B8: 85153C24
	s_mov_b64 exec, s[20:21]                                   // 00000000B3BC: BEFE0114
	global_atomic_add_f32 v6, v103, s[8:9] offset:8            // 00000000B3C0: DD348008 00086706
	global_atomic_add_f32 v6, v107, s[8:9] offset:264          // 00000000B3C8: DD348108 00086B06
	s_mov_b64 exec, s[36:37]                                   // 00000000B3D0: BEFE0124
	v_mov_b32_e32 v6, v62                                      // 00000000B3D4: 7E0C033E
	s_mov_b64 s[60:61], 0                                      // 00000000B3D8: BEBC0180
	v_readlane_b32 s82, v3, 20                                 // 00000000B3DC: D2890052 00012903
	s_and_b32 s82, s82, 0xffffff                               // 00000000B3E4: 8652FF52 00FFFFFF
	s_cmp_lt_u32 s82, s66                                      // 00000000B3EC: BF0A4252
	s_cselect_b32 s20, s36, s60                                // 00000000B3F0: 85143C24
	v_readlane_b32 s82, v3, 21                                 // 00000000B3F4: D2890052 00012B03
	s_and_b32 s82, s82, 0xffffff                               // 00000000B3FC: 8652FF52 00FFFFFF
	s_cmp_lt_u32 s82, s66                                      // 00000000B404: BF0A4252
	s_cselect_b32 s21, s36, s60                                // 00000000B408: 85153C24
	s_mov_b64 exec, s[20:21]                                   // 00000000B40C: BEFE0114
	global_atomic_add_f32 v6, v110, s[8:9] offset:8            // 00000000B410: DD348008 00086E06
	global_atomic_add_f32 v6, v114, s[8:9] offset:264          // 00000000B418: DD348108 00087206
	s_mov_b64 exec, s[36:37]                                   // 00000000B420: BEFE0124
	v_mov_b32_e32 v6, v63                                      // 00000000B424: 7E0C033F
	s_mov_b64 s[60:61], 0                                      // 00000000B428: BEBC0180
	v_readlane_b32 s82, v3, 22                                 // 00000000B42C: D2890052 00012D03
	s_and_b32 s82, s82, 0xffffff                               // 00000000B434: 8652FF52 00FFFFFF
	s_cmp_lt_u32 s82, s66                                      // 00000000B43C: BF0A4252
	s_cselect_b32 s20, s36, s60                                // 00000000B440: 85143C24
	v_readlane_b32 s82, v3, 23                                 // 00000000B444: D2890052 00012F03
	s_and_b32 s82, s82, 0xffffff                               // 00000000B44C: 8652FF52 00FFFFFF
	s_cmp_lt_u32 s82, s66                                      // 00000000B454: BF0A4252
	s_cselect_b32 s21, s36, s60                                // 00000000B458: 85153C24
	s_mov_b64 exec, s[20:21]                                   // 00000000B45C: BEFE0114
	global_atomic_add_f32 v6, v111, s[8:9] offset:8            // 00000000B460: DD348008 00086F06
	global_atomic_add_f32 v6, v115, s[8:9] offset:264          // 00000000B468: DD348108 00087306
	s_mov_b64 exec, s[36:37]                                   // 00000000B470: BEFE0124
	ds_write_b64 v20, v[116:117]                               // 00000000B474: D89A0000 00007414
	ds_write_b64 v20, v[120:121] offset:4352                   // 00000000B47C: D89A1100 00007814
	ds_write_b64 v20, v[124:125] offset:8704                   // 00000000B484: D89A2200 00007C14
	ds_write_b64 v20, v[128:129] offset:13056                  // 00000000B48C: D89A3300 00008014
	ds_write_b64 v20, v[132:133] offset:17408                  // 00000000B494: D89A4400 00008414
	ds_write_b64 v20, v[136:137] offset:21760                  // 00000000B49C: D89A5500 00008814
	ds_write_b64 v20, v[140:141] offset:2176                   // 00000000B4A4: D89A0880 00008C14
	ds_write_b64 v20, v[144:145] offset:6528                   // 00000000B4AC: D89A1980 00009014
	ds_write_b64 v20, v[148:149] offset:10880                  // 00000000B4B4: D89A2A80 00009414
	ds_write_b64 v20, v[152:153] offset:15232                  // 00000000B4BC: D89A3B80 00009814
	ds_write_b64 v20, v[156:157] offset:19584                  // 00000000B4C4: D89A4C80 00009C14
	ds_write_b64 v20, v[160:161] offset:23936                  // 00000000B4CC: D89A5D80 0000A014
	s_waitcnt lgkmcnt(0)                                       // 00000000B4D4: BF8CC07F
	s_barrier                                                  // 00000000B4D8: BF8A0000
	ds_read_b32 v116, v21                                      // 00000000B4DC: D86C0000 74000015
	ds_read_b32 v117, v21 offset:64                            // 00000000B4E4: D86C0040 75000015
	ds_read_b32 v120, v21 offset:2176                          // 00000000B4EC: D86C0880 78000015
	ds_read_b32 v121, v21 offset:2240                          // 00000000B4F4: D86C08C0 79000015
	ds_read_b32 v124, v21 offset:4352                          // 00000000B4FC: D86C1100 7C000015
	ds_read_b32 v125, v21 offset:4416                          // 00000000B504: D86C1140 7D000015
	ds_read_b32 v128, v21 offset:6528                          // 00000000B50C: D86C1980 80000015
	ds_read_b32 v129, v21 offset:6592                          // 00000000B514: D86C19C0 81000015
	ds_read_b32 v132, v21 offset:8704                          // 00000000B51C: D86C2200 84000015
	ds_read_b32 v133, v21 offset:8768                          // 00000000B524: D86C2240 85000015
	ds_read_b32 v136, v21 offset:10880                         // 00000000B52C: D86C2A80 88000015
	ds_read_b32 v137, v21 offset:10944                         // 00000000B534: D86C2AC0 89000015
	ds_read_b32 v140, v21 offset:13056                         // 00000000B53C: D86C3300 8C000015
	ds_read_b32 v141, v21 offset:13120                         // 00000000B544: D86C3340 8D000015
	ds_read_b32 v144, v21 offset:15232                         // 00000000B54C: D86C3B80 90000015
	ds_read_b32 v145, v21 offset:15296                         // 00000000B554: D86C3BC0 91000015
	ds_read_b32 v148, v21 offset:17408                         // 00000000B55C: D86C4400 94000015
	ds_read_b32 v149, v21 offset:17472                         // 00000000B564: D86C4440 95000015
	ds_read_b32 v152, v21 offset:19584                         // 00000000B56C: D86C4C80 98000015
	ds_read_b32 v153, v21 offset:19648                         // 00000000B574: D86C4CC0 99000015
	ds_read_b32 v156, v21 offset:21760                         // 00000000B57C: D86C5500 9C000015
	ds_read_b32 v157, v21 offset:21824                         // 00000000B584: D86C5540 9D000015
	ds_read_b32 v160, v21 offset:23936                         // 00000000B58C: D86C5D80 A0000015
	ds_read_b32 v161, v21 offset:24000                         // 00000000B594: D86C5DC0 A1000015
	s_mul_i32 s60, s65, 4                                      // 00000000B59C: 923C8441
	s_add_u32 s8, s60, s8                                      // 00000000B5A0: 8008083C
	s_addc_u32 s9, 0, s9                                       // 00000000B5A4: 82090980
	s_waitcnt lgkmcnt(0)                                       // 00000000B5A8: BF8CC07F
	v_mov_b32_e32 v7, 0                                        // 00000000B5AC: 7E0E0280
	s_mov_b64 exec, s[36:37]                                   // 00000000B5B0: BEFE0124
	v_mov_b32_e32 v6, v52                                      // 00000000B5B4: 7E0C0334
	s_mov_b64 s[60:61], 0                                      // 00000000B5B8: BEBC0180
	v_readlane_b32 s82, v3, 0                                  // 00000000B5BC: D2890052 00010103
	s_and_b32 s82, s82, 0xffffff                               // 00000000B5C4: 8652FF52 00FFFFFF
	s_cmp_lt_u32 s82, s66                                      // 00000000B5CC: BF0A4252
	s_cselect_b32 s20, s36, s60                                // 00000000B5D0: 85143C24
	v_readlane_b32 s82, v3, 1                                  // 00000000B5D4: D2890052 00010303
	s_and_b32 s82, s82, 0xffffff                               // 00000000B5DC: 8652FF52 00FFFFFF
	s_cmp_lt_u32 s82, s66                                      // 00000000B5E4: BF0A4252
	s_cselect_b32 s21, s36, s60                                // 00000000B5E8: 85153C24
	s_mov_b64 exec, s[20:21]                                   // 00000000B5EC: BEFE0114
	global_atomic_add_f32 v6, v116, s[8:9]                     // 00000000B5F0: DD348000 00087406
	global_atomic_add_f32 v6, v120, s[8:9] offset:256          // 00000000B5F8: DD348100 00087806
	s_mov_b64 exec, s[36:37]                                   // 00000000B600: BEFE0124
	v_mov_b32_e32 v6, v53                                      // 00000000B604: 7E0C0335
	s_mov_b64 s[60:61], 0                                      // 00000000B608: BEBC0180
	v_readlane_b32 s82, v3, 2                                  // 00000000B60C: D2890052 00010503
	s_and_b32 s82, s82, 0xffffff                               // 00000000B614: 8652FF52 00FFFFFF
	s_cmp_lt_u32 s82, s66                                      // 00000000B61C: BF0A4252
	s_cselect_b32 s20, s36, s60                                // 00000000B620: 85143C24
	v_readlane_b32 s82, v3, 3                                  // 00000000B624: D2890052 00010703
	s_and_b32 s82, s82, 0xffffff                               // 00000000B62C: 8652FF52 00FFFFFF
	s_cmp_lt_u32 s82, s66                                      // 00000000B634: BF0A4252
	s_cselect_b32 s21, s36, s60                                // 00000000B638: 85153C24
	s_mov_b64 exec, s[20:21]                                   // 00000000B63C: BEFE0114
	global_atomic_add_f32 v6, v117, s[8:9]                     // 00000000B640: DD348000 00087506
	global_atomic_add_f32 v6, v121, s[8:9] offset:256          // 00000000B648: DD348100 00087906
	s_mov_b64 exec, s[36:37]                                   // 00000000B650: BEFE0124
	v_mov_b32_e32 v6, v54                                      // 00000000B654: 7E0C0336
	s_mov_b64 s[60:61], 0                                      // 00000000B658: BEBC0180
	v_readlane_b32 s82, v3, 4                                  // 00000000B65C: D2890052 00010903
	s_and_b32 s82, s82, 0xffffff                               // 00000000B664: 8652FF52 00FFFFFF
	s_cmp_lt_u32 s82, s66                                      // 00000000B66C: BF0A4252
	s_cselect_b32 s20, s36, s60                                // 00000000B670: 85143C24
	v_readlane_b32 s82, v3, 5                                  // 00000000B674: D2890052 00010B03
	s_and_b32 s82, s82, 0xffffff                               // 00000000B67C: 8652FF52 00FFFFFF
	s_cmp_lt_u32 s82, s66                                      // 00000000B684: BF0A4252
	s_cselect_b32 s21, s36, s60                                // 00000000B688: 85153C24
	s_mov_b64 exec, s[20:21]                                   // 00000000B68C: BEFE0114
	global_atomic_add_f32 v6, v124, s[8:9]                     // 00000000B690: DD348000 00087C06
	global_atomic_add_f32 v6, v128, s[8:9] offset:256          // 00000000B698: DD348100 00088006
	s_mov_b64 exec, s[36:37]                                   // 00000000B6A0: BEFE0124
	v_mov_b32_e32 v6, v55                                      // 00000000B6A4: 7E0C0337
	s_mov_b64 s[60:61], 0                                      // 00000000B6A8: BEBC0180
	v_readlane_b32 s82, v3, 6                                  // 00000000B6AC: D2890052 00010D03
	s_and_b32 s82, s82, 0xffffff                               // 00000000B6B4: 8652FF52 00FFFFFF
	s_cmp_lt_u32 s82, s66                                      // 00000000B6BC: BF0A4252
	s_cselect_b32 s20, s36, s60                                // 00000000B6C0: 85143C24
	v_readlane_b32 s82, v3, 7                                  // 00000000B6C4: D2890052 00010F03
	s_and_b32 s82, s82, 0xffffff                               // 00000000B6CC: 8652FF52 00FFFFFF
	s_cmp_lt_u32 s82, s66                                      // 00000000B6D4: BF0A4252
	s_cselect_b32 s21, s36, s60                                // 00000000B6D8: 85153C24
	s_mov_b64 exec, s[20:21]                                   // 00000000B6DC: BEFE0114
	global_atomic_add_f32 v6, v125, s[8:9]                     // 00000000B6E0: DD348000 00087D06
	global_atomic_add_f32 v6, v129, s[8:9] offset:256          // 00000000B6E8: DD348100 00088106
	s_mov_b64 exec, s[36:37]                                   // 00000000B6F0: BEFE0124
	v_mov_b32_e32 v6, v56                                      // 00000000B6F4: 7E0C0338
	s_mov_b64 s[60:61], 0                                      // 00000000B6F8: BEBC0180
	v_readlane_b32 s82, v3, 8                                  // 00000000B6FC: D2890052 00011103
	s_and_b32 s82, s82, 0xffffff                               // 00000000B704: 8652FF52 00FFFFFF
	s_cmp_lt_u32 s82, s66                                      // 00000000B70C: BF0A4252
	s_cselect_b32 s20, s36, s60                                // 00000000B710: 85143C24
	v_readlane_b32 s82, v3, 9                                  // 00000000B714: D2890052 00011303
	s_and_b32 s82, s82, 0xffffff                               // 00000000B71C: 8652FF52 00FFFFFF
	s_cmp_lt_u32 s82, s66                                      // 00000000B724: BF0A4252
	s_cselect_b32 s21, s36, s60                                // 00000000B728: 85153C24
	s_mov_b64 exec, s[20:21]                                   // 00000000B72C: BEFE0114
	global_atomic_add_f32 v6, v132, s[8:9]                     // 00000000B730: DD348000 00088406
	global_atomic_add_f32 v6, v136, s[8:9] offset:256          // 00000000B738: DD348100 00088806
	s_mov_b64 exec, s[36:37]                                   // 00000000B740: BEFE0124
	v_mov_b32_e32 v6, v57                                      // 00000000B744: 7E0C0339
	s_mov_b64 s[60:61], 0                                      // 00000000B748: BEBC0180
	v_readlane_b32 s82, v3, 10                                 // 00000000B74C: D2890052 00011503
	s_and_b32 s82, s82, 0xffffff                               // 00000000B754: 8652FF52 00FFFFFF
	s_cmp_lt_u32 s82, s66                                      // 00000000B75C: BF0A4252
	s_cselect_b32 s20, s36, s60                                // 00000000B760: 85143C24
	v_readlane_b32 s82, v3, 11                                 // 00000000B764: D2890052 00011703
	s_and_b32 s82, s82, 0xffffff                               // 00000000B76C: 8652FF52 00FFFFFF
	s_cmp_lt_u32 s82, s66                                      // 00000000B774: BF0A4252
	s_cselect_b32 s21, s36, s60                                // 00000000B778: 85153C24
	s_mov_b64 exec, s[20:21]                                   // 00000000B77C: BEFE0114
	global_atomic_add_f32 v6, v133, s[8:9]                     // 00000000B780: DD348000 00088506
	global_atomic_add_f32 v6, v137, s[8:9] offset:256          // 00000000B788: DD348100 00088906
	s_mov_b64 exec, s[36:37]                                   // 00000000B790: BEFE0124
	v_mov_b32_e32 v6, v58                                      // 00000000B794: 7E0C033A
	s_mov_b64 s[60:61], 0                                      // 00000000B798: BEBC0180
	v_readlane_b32 s82, v3, 12                                 // 00000000B79C: D2890052 00011903
	s_and_b32 s82, s82, 0xffffff                               // 00000000B7A4: 8652FF52 00FFFFFF
	s_cmp_lt_u32 s82, s66                                      // 00000000B7AC: BF0A4252
	s_cselect_b32 s20, s36, s60                                // 00000000B7B0: 85143C24
	v_readlane_b32 s82, v3, 13                                 // 00000000B7B4: D2890052 00011B03
	s_and_b32 s82, s82, 0xffffff                               // 00000000B7BC: 8652FF52 00FFFFFF
	s_cmp_lt_u32 s82, s66                                      // 00000000B7C4: BF0A4252
	s_cselect_b32 s21, s36, s60                                // 00000000B7C8: 85153C24
	s_mov_b64 exec, s[20:21]                                   // 00000000B7CC: BEFE0114
	global_atomic_add_f32 v6, v140, s[8:9]                     // 00000000B7D0: DD348000 00088C06
	global_atomic_add_f32 v6, v144, s[8:9] offset:256          // 00000000B7D8: DD348100 00089006
	s_mov_b64 exec, s[36:37]                                   // 00000000B7E0: BEFE0124
	v_mov_b32_e32 v6, v59                                      // 00000000B7E4: 7E0C033B
	s_mov_b64 s[60:61], 0                                      // 00000000B7E8: BEBC0180
	v_readlane_b32 s82, v3, 14                                 // 00000000B7EC: D2890052 00011D03
	s_and_b32 s82, s82, 0xffffff                               // 00000000B7F4: 8652FF52 00FFFFFF
	s_cmp_lt_u32 s82, s66                                      // 00000000B7FC: BF0A4252
	s_cselect_b32 s20, s36, s60                                // 00000000B800: 85143C24
	v_readlane_b32 s82, v3, 15                                 // 00000000B804: D2890052 00011F03
	s_and_b32 s82, s82, 0xffffff                               // 00000000B80C: 8652FF52 00FFFFFF
	s_cmp_lt_u32 s82, s66                                      // 00000000B814: BF0A4252
	s_cselect_b32 s21, s36, s60                                // 00000000B818: 85153C24
	s_mov_b64 exec, s[20:21]                                   // 00000000B81C: BEFE0114
	global_atomic_add_f32 v6, v141, s[8:9]                     // 00000000B820: DD348000 00088D06
	global_atomic_add_f32 v6, v145, s[8:9] offset:256          // 00000000B828: DD348100 00089106
	s_mov_b64 exec, s[36:37]                                   // 00000000B830: BEFE0124
	v_mov_b32_e32 v6, v60                                      // 00000000B834: 7E0C033C
	s_mov_b64 s[60:61], 0                                      // 00000000B838: BEBC0180
	v_readlane_b32 s82, v3, 16                                 // 00000000B83C: D2890052 00012103
	s_and_b32 s82, s82, 0xffffff                               // 00000000B844: 8652FF52 00FFFFFF
	s_cmp_lt_u32 s82, s66                                      // 00000000B84C: BF0A4252
	s_cselect_b32 s20, s36, s60                                // 00000000B850: 85143C24
	v_readlane_b32 s82, v3, 17                                 // 00000000B854: D2890052 00012303
	s_and_b32 s82, s82, 0xffffff                               // 00000000B85C: 8652FF52 00FFFFFF
	s_cmp_lt_u32 s82, s66                                      // 00000000B864: BF0A4252
	s_cselect_b32 s21, s36, s60                                // 00000000B868: 85153C24
	s_mov_b64 exec, s[20:21]                                   // 00000000B86C: BEFE0114
	global_atomic_add_f32 v6, v148, s[8:9]                     // 00000000B870: DD348000 00089406
	global_atomic_add_f32 v6, v152, s[8:9] offset:256          // 00000000B878: DD348100 00089806
	s_mov_b64 exec, s[36:37]                                   // 00000000B880: BEFE0124
	v_mov_b32_e32 v6, v61                                      // 00000000B884: 7E0C033D
	s_mov_b64 s[60:61], 0                                      // 00000000B888: BEBC0180
	v_readlane_b32 s82, v3, 18                                 // 00000000B88C: D2890052 00012503
	s_and_b32 s82, s82, 0xffffff                               // 00000000B894: 8652FF52 00FFFFFF
	s_cmp_lt_u32 s82, s66                                      // 00000000B89C: BF0A4252
	s_cselect_b32 s20, s36, s60                                // 00000000B8A0: 85143C24
	v_readlane_b32 s82, v3, 19                                 // 00000000B8A4: D2890052 00012703
	s_and_b32 s82, s82, 0xffffff                               // 00000000B8AC: 8652FF52 00FFFFFF
	s_cmp_lt_u32 s82, s66                                      // 00000000B8B4: BF0A4252
	s_cselect_b32 s21, s36, s60                                // 00000000B8B8: 85153C24
	s_mov_b64 exec, s[20:21]                                   // 00000000B8BC: BEFE0114
	global_atomic_add_f32 v6, v149, s[8:9]                     // 00000000B8C0: DD348000 00089506
	global_atomic_add_f32 v6, v153, s[8:9] offset:256          // 00000000B8C8: DD348100 00089906
	s_mov_b64 exec, s[36:37]                                   // 00000000B8D0: BEFE0124
	v_mov_b32_e32 v6, v62                                      // 00000000B8D4: 7E0C033E
	s_mov_b64 s[60:61], 0                                      // 00000000B8D8: BEBC0180
	v_readlane_b32 s82, v3, 20                                 // 00000000B8DC: D2890052 00012903
	s_and_b32 s82, s82, 0xffffff                               // 00000000B8E4: 8652FF52 00FFFFFF
	s_cmp_lt_u32 s82, s66                                      // 00000000B8EC: BF0A4252
	s_cselect_b32 s20, s36, s60                                // 00000000B8F0: 85143C24
	v_readlane_b32 s82, v3, 21                                 // 00000000B8F4: D2890052 00012B03
	s_and_b32 s82, s82, 0xffffff                               // 00000000B8FC: 8652FF52 00FFFFFF
	s_cmp_lt_u32 s82, s66                                      // 00000000B904: BF0A4252
	s_cselect_b32 s21, s36, s60                                // 00000000B908: 85153C24
	s_mov_b64 exec, s[20:21]                                   // 00000000B90C: BEFE0114
	global_atomic_add_f32 v6, v156, s[8:9]                     // 00000000B910: DD348000 00089C06
	global_atomic_add_f32 v6, v160, s[8:9] offset:256          // 00000000B918: DD348100 0008A006
	s_mov_b64 exec, s[36:37]                                   // 00000000B920: BEFE0124
	v_mov_b32_e32 v6, v63                                      // 00000000B924: 7E0C033F
	s_mov_b64 s[60:61], 0                                      // 00000000B928: BEBC0180
	v_readlane_b32 s82, v3, 22                                 // 00000000B92C: D2890052 00012D03
	s_and_b32 s82, s82, 0xffffff                               // 00000000B934: 8652FF52 00FFFFFF
	s_cmp_lt_u32 s82, s66                                      // 00000000B93C: BF0A4252
	s_cselect_b32 s20, s36, s60                                // 00000000B940: 85143C24
	v_readlane_b32 s82, v3, 23                                 // 00000000B944: D2890052 00012F03
	s_and_b32 s82, s82, 0xffffff                               // 00000000B94C: 8652FF52 00FFFFFF
	s_cmp_lt_u32 s82, s66                                      // 00000000B954: BF0A4252
	s_cselect_b32 s21, s36, s60                                // 00000000B958: 85153C24
	s_mov_b64 exec, s[20:21]                                   // 00000000B95C: BEFE0114
	global_atomic_add_f32 v6, v157, s[8:9]                     // 00000000B960: DD348000 00089D06
	global_atomic_add_f32 v6, v161, s[8:9] offset:256          // 00000000B968: DD348100 0008A106
	s_mov_b64 exec, s[36:37]                                   // 00000000B970: BEFE0124
	ds_write_b64 v20, v[118:119]                               // 00000000B974: D89A0000 00007614
	ds_write_b64 v20, v[122:123] offset:4352                   // 00000000B97C: D89A1100 00007A14
	ds_write_b64 v20, v[126:127] offset:8704                   // 00000000B984: D89A2200 00007E14
	ds_write_b64 v20, v[130:131] offset:13056                  // 00000000B98C: D89A3300 00008214
	ds_write_b64 v20, v[134:135] offset:17408                  // 00000000B994: D89A4400 00008614
	ds_write_b64 v20, v[138:139] offset:21760                  // 00000000B99C: D89A5500 00008A14
	ds_write_b64 v20, v[142:143] offset:2176                   // 00000000B9A4: D89A0880 00008E14
	ds_write_b64 v20, v[146:147] offset:6528                   // 00000000B9AC: D89A1980 00009214
	ds_write_b64 v20, v[150:151] offset:10880                  // 00000000B9B4: D89A2A80 00009614
	ds_write_b64 v20, v[154:155] offset:15232                  // 00000000B9BC: D89A3B80 00009A14
	ds_write_b64 v20, v[158:159] offset:19584                  // 00000000B9C4: D89A4C80 00009E14
	ds_write_b64 v20, v[162:163] offset:23936                  // 00000000B9CC: D89A5D80 0000A214
	s_waitcnt lgkmcnt(0)                                       // 00000000B9D4: BF8CC07F
	s_barrier                                                  // 00000000B9D8: BF8A0000
	ds_read_b32 v118, v21                                      // 00000000B9DC: D86C0000 76000015
	ds_read_b32 v119, v21 offset:64                            // 00000000B9E4: D86C0040 77000015
	ds_read_b32 v122, v21 offset:2176                          // 00000000B9EC: D86C0880 7A000015
	ds_read_b32 v123, v21 offset:2240                          // 00000000B9F4: D86C08C0 7B000015
	ds_read_b32 v126, v21 offset:4352                          // 00000000B9FC: D86C1100 7E000015
	ds_read_b32 v127, v21 offset:4416                          // 00000000BA04: D86C1140 7F000015
	ds_read_b32 v130, v21 offset:6528                          // 00000000BA0C: D86C1980 82000015
	ds_read_b32 v131, v21 offset:6592                          // 00000000BA14: D86C19C0 83000015
	ds_read_b32 v134, v21 offset:8704                          // 00000000BA1C: D86C2200 86000015
	ds_read_b32 v135, v21 offset:8768                          // 00000000BA24: D86C2240 87000015
	ds_read_b32 v138, v21 offset:10880                         // 00000000BA2C: D86C2A80 8A000015
	ds_read_b32 v139, v21 offset:10944                         // 00000000BA34: D86C2AC0 8B000015
	ds_read_b32 v142, v21 offset:13056                         // 00000000BA3C: D86C3300 8E000015
	ds_read_b32 v143, v21 offset:13120                         // 00000000BA44: D86C3340 8F000015
	ds_read_b32 v146, v21 offset:15232                         // 00000000BA4C: D86C3B80 92000015
	ds_read_b32 v147, v21 offset:15296                         // 00000000BA54: D86C3BC0 93000015
	ds_read_b32 v150, v21 offset:17408                         // 00000000BA5C: D86C4400 96000015
	ds_read_b32 v151, v21 offset:17472                         // 00000000BA64: D86C4440 97000015
	ds_read_b32 v154, v21 offset:19584                         // 00000000BA6C: D86C4C80 9A000015
	ds_read_b32 v155, v21 offset:19648                         // 00000000BA74: D86C4CC0 9B000015
	ds_read_b32 v158, v21 offset:21760                         // 00000000BA7C: D86C5500 9E000015
	ds_read_b32 v159, v21 offset:21824                         // 00000000BA84: D86C5540 9F000015
	ds_read_b32 v162, v21 offset:23936                         // 00000000BA8C: D86C5D80 A2000015
	ds_read_b32 v163, v21 offset:24000                         // 00000000BA94: D86C5DC0 A3000015
	s_waitcnt lgkmcnt(0)                                       // 00000000BA9C: BF8CC07F
	v_mov_b32_e32 v7, 0                                        // 00000000BAA0: 7E0E0280
	s_mov_b64 exec, s[36:37]                                   // 00000000BAA4: BEFE0124
	v_mov_b32_e32 v6, v52                                      // 00000000BAA8: 7E0C0334
	s_mov_b64 s[60:61], 0                                      // 00000000BAAC: BEBC0180
	v_readlane_b32 s82, v3, 0                                  // 00000000BAB0: D2890052 00010103
	s_and_b32 s82, s82, 0xffffff                               // 00000000BAB8: 8652FF52 00FFFFFF
	s_cmp_lt_u32 s82, s66                                      // 00000000BAC0: BF0A4252
	s_cselect_b32 s20, s36, s60                                // 00000000BAC4: 85143C24
	v_readlane_b32 s82, v3, 1                                  // 00000000BAC8: D2890052 00010303
	s_and_b32 s82, s82, 0xffffff                               // 00000000BAD0: 8652FF52 00FFFFFF
	s_cmp_lt_u32 s82, s66                                      // 00000000BAD8: BF0A4252
	s_cselect_b32 s21, s36, s60                                // 00000000BADC: 85153C24
	s_mov_b64 exec, s[20:21]                                   // 00000000BAE0: BEFE0114
	global_atomic_add_f32 v6, v118, s[8:9] offset:8            // 00000000BAE4: DD348008 00087606
	global_atomic_add_f32 v6, v122, s[8:9] offset:264          // 00000000BAEC: DD348108 00087A06
	s_mov_b64 exec, s[36:37]                                   // 00000000BAF4: BEFE0124
	v_mov_b32_e32 v6, v53                                      // 00000000BAF8: 7E0C0335
	s_mov_b64 s[60:61], 0                                      // 00000000BAFC: BEBC0180
	v_readlane_b32 s82, v3, 2                                  // 00000000BB00: D2890052 00010503
	s_and_b32 s82, s82, 0xffffff                               // 00000000BB08: 8652FF52 00FFFFFF
	s_cmp_lt_u32 s82, s66                                      // 00000000BB10: BF0A4252
	s_cselect_b32 s20, s36, s60                                // 00000000BB14: 85143C24
	v_readlane_b32 s82, v3, 3                                  // 00000000BB18: D2890052 00010703
	s_and_b32 s82, s82, 0xffffff                               // 00000000BB20: 8652FF52 00FFFFFF
	s_cmp_lt_u32 s82, s66                                      // 00000000BB28: BF0A4252
	s_cselect_b32 s21, s36, s60                                // 00000000BB2C: 85153C24
	s_mov_b64 exec, s[20:21]                                   // 00000000BB30: BEFE0114
	global_atomic_add_f32 v6, v119, s[8:9] offset:8            // 00000000BB34: DD348008 00087706
	global_atomic_add_f32 v6, v123, s[8:9] offset:264          // 00000000BB3C: DD348108 00087B06
	s_mov_b64 exec, s[36:37]                                   // 00000000BB44: BEFE0124
	v_mov_b32_e32 v6, v54                                      // 00000000BB48: 7E0C0336
	s_mov_b64 s[60:61], 0                                      // 00000000BB4C: BEBC0180
	v_readlane_b32 s82, v3, 4                                  // 00000000BB50: D2890052 00010903
	s_and_b32 s82, s82, 0xffffff                               // 00000000BB58: 8652FF52 00FFFFFF
	s_cmp_lt_u32 s82, s66                                      // 00000000BB60: BF0A4252
	s_cselect_b32 s20, s36, s60                                // 00000000BB64: 85143C24
	v_readlane_b32 s82, v3, 5                                  // 00000000BB68: D2890052 00010B03
	s_and_b32 s82, s82, 0xffffff                               // 00000000BB70: 8652FF52 00FFFFFF
	s_cmp_lt_u32 s82, s66                                      // 00000000BB78: BF0A4252
	s_cselect_b32 s21, s36, s60                                // 00000000BB7C: 85153C24
	s_mov_b64 exec, s[20:21]                                   // 00000000BB80: BEFE0114
	global_atomic_add_f32 v6, v126, s[8:9] offset:8            // 00000000BB84: DD348008 00087E06
	global_atomic_add_f32 v6, v130, s[8:9] offset:264          // 00000000BB8C: DD348108 00088206
	s_mov_b64 exec, s[36:37]                                   // 00000000BB94: BEFE0124
	v_mov_b32_e32 v6, v55                                      // 00000000BB98: 7E0C0337
	s_mov_b64 s[60:61], 0                                      // 00000000BB9C: BEBC0180
	v_readlane_b32 s82, v3, 6                                  // 00000000BBA0: D2890052 00010D03
	s_and_b32 s82, s82, 0xffffff                               // 00000000BBA8: 8652FF52 00FFFFFF
	s_cmp_lt_u32 s82, s66                                      // 00000000BBB0: BF0A4252
	s_cselect_b32 s20, s36, s60                                // 00000000BBB4: 85143C24
	v_readlane_b32 s82, v3, 7                                  // 00000000BBB8: D2890052 00010F03
	s_and_b32 s82, s82, 0xffffff                               // 00000000BBC0: 8652FF52 00FFFFFF
	s_cmp_lt_u32 s82, s66                                      // 00000000BBC8: BF0A4252
	s_cselect_b32 s21, s36, s60                                // 00000000BBCC: 85153C24
	s_mov_b64 exec, s[20:21]                                   // 00000000BBD0: BEFE0114
	global_atomic_add_f32 v6, v127, s[8:9] offset:8            // 00000000BBD4: DD348008 00087F06
	global_atomic_add_f32 v6, v131, s[8:9] offset:264          // 00000000BBDC: DD348108 00088306
	s_mov_b64 exec, s[36:37]                                   // 00000000BBE4: BEFE0124
	v_mov_b32_e32 v6, v56                                      // 00000000BBE8: 7E0C0338
	s_mov_b64 s[60:61], 0                                      // 00000000BBEC: BEBC0180
	v_readlane_b32 s82, v3, 8                                  // 00000000BBF0: D2890052 00011103
	s_and_b32 s82, s82, 0xffffff                               // 00000000BBF8: 8652FF52 00FFFFFF
	s_cmp_lt_u32 s82, s66                                      // 00000000BC00: BF0A4252
	s_cselect_b32 s20, s36, s60                                // 00000000BC04: 85143C24
	v_readlane_b32 s82, v3, 9                                  // 00000000BC08: D2890052 00011303
	s_and_b32 s82, s82, 0xffffff                               // 00000000BC10: 8652FF52 00FFFFFF
	s_cmp_lt_u32 s82, s66                                      // 00000000BC18: BF0A4252
	s_cselect_b32 s21, s36, s60                                // 00000000BC1C: 85153C24
	s_mov_b64 exec, s[20:21]                                   // 00000000BC20: BEFE0114
	global_atomic_add_f32 v6, v134, s[8:9] offset:8            // 00000000BC24: DD348008 00088606
	global_atomic_add_f32 v6, v138, s[8:9] offset:264          // 00000000BC2C: DD348108 00088A06
	s_mov_b64 exec, s[36:37]                                   // 00000000BC34: BEFE0124
	v_mov_b32_e32 v6, v57                                      // 00000000BC38: 7E0C0339
	s_mov_b64 s[60:61], 0                                      // 00000000BC3C: BEBC0180
	v_readlane_b32 s82, v3, 10                                 // 00000000BC40: D2890052 00011503
	s_and_b32 s82, s82, 0xffffff                               // 00000000BC48: 8652FF52 00FFFFFF
	s_cmp_lt_u32 s82, s66                                      // 00000000BC50: BF0A4252
	s_cselect_b32 s20, s36, s60                                // 00000000BC54: 85143C24
	v_readlane_b32 s82, v3, 11                                 // 00000000BC58: D2890052 00011703
	s_and_b32 s82, s82, 0xffffff                               // 00000000BC60: 8652FF52 00FFFFFF
	s_cmp_lt_u32 s82, s66                                      // 00000000BC68: BF0A4252
	s_cselect_b32 s21, s36, s60                                // 00000000BC6C: 85153C24
	s_mov_b64 exec, s[20:21]                                   // 00000000BC70: BEFE0114
	global_atomic_add_f32 v6, v135, s[8:9] offset:8            // 00000000BC74: DD348008 00088706
	global_atomic_add_f32 v6, v139, s[8:9] offset:264          // 00000000BC7C: DD348108 00088B06
	s_mov_b64 exec, s[36:37]                                   // 00000000BC84: BEFE0124
	v_mov_b32_e32 v6, v58                                      // 00000000BC88: 7E0C033A
	s_mov_b64 s[60:61], 0                                      // 00000000BC8C: BEBC0180
	v_readlane_b32 s82, v3, 12                                 // 00000000BC90: D2890052 00011903
	s_and_b32 s82, s82, 0xffffff                               // 00000000BC98: 8652FF52 00FFFFFF
	s_cmp_lt_u32 s82, s66                                      // 00000000BCA0: BF0A4252
	s_cselect_b32 s20, s36, s60                                // 00000000BCA4: 85143C24
	v_readlane_b32 s82, v3, 13                                 // 00000000BCA8: D2890052 00011B03
	s_and_b32 s82, s82, 0xffffff                               // 00000000BCB0: 8652FF52 00FFFFFF
	s_cmp_lt_u32 s82, s66                                      // 00000000BCB8: BF0A4252
	s_cselect_b32 s21, s36, s60                                // 00000000BCBC: 85153C24
	s_mov_b64 exec, s[20:21]                                   // 00000000BCC0: BEFE0114
	global_atomic_add_f32 v6, v142, s[8:9] offset:8            // 00000000BCC4: DD348008 00088E06
	global_atomic_add_f32 v6, v146, s[8:9] offset:264          // 00000000BCCC: DD348108 00089206
	s_mov_b64 exec, s[36:37]                                   // 00000000BCD4: BEFE0124
	v_mov_b32_e32 v6, v59                                      // 00000000BCD8: 7E0C033B
	s_mov_b64 s[60:61], 0                                      // 00000000BCDC: BEBC0180
	v_readlane_b32 s82, v3, 14                                 // 00000000BCE0: D2890052 00011D03
	s_and_b32 s82, s82, 0xffffff                               // 00000000BCE8: 8652FF52 00FFFFFF
	s_cmp_lt_u32 s82, s66                                      // 00000000BCF0: BF0A4252
	s_cselect_b32 s20, s36, s60                                // 00000000BCF4: 85143C24
	v_readlane_b32 s82, v3, 15                                 // 00000000BCF8: D2890052 00011F03
	s_and_b32 s82, s82, 0xffffff                               // 00000000BD00: 8652FF52 00FFFFFF
	s_cmp_lt_u32 s82, s66                                      // 00000000BD08: BF0A4252
	s_cselect_b32 s21, s36, s60                                // 00000000BD0C: 85153C24
	s_mov_b64 exec, s[20:21]                                   // 00000000BD10: BEFE0114
	global_atomic_add_f32 v6, v143, s[8:9] offset:8            // 00000000BD14: DD348008 00088F06
	global_atomic_add_f32 v6, v147, s[8:9] offset:264          // 00000000BD1C: DD348108 00089306
	s_mov_b64 exec, s[36:37]                                   // 00000000BD24: BEFE0124
	v_mov_b32_e32 v6, v60                                      // 00000000BD28: 7E0C033C
	s_mov_b64 s[60:61], 0                                      // 00000000BD2C: BEBC0180
	v_readlane_b32 s82, v3, 16                                 // 00000000BD30: D2890052 00012103
	s_and_b32 s82, s82, 0xffffff                               // 00000000BD38: 8652FF52 00FFFFFF
	s_cmp_lt_u32 s82, s66                                      // 00000000BD40: BF0A4252
	s_cselect_b32 s20, s36, s60                                // 00000000BD44: 85143C24
	v_readlane_b32 s82, v3, 17                                 // 00000000BD48: D2890052 00012303
	s_and_b32 s82, s82, 0xffffff                               // 00000000BD50: 8652FF52 00FFFFFF
	s_cmp_lt_u32 s82, s66                                      // 00000000BD58: BF0A4252
	s_cselect_b32 s21, s36, s60                                // 00000000BD5C: 85153C24
	s_mov_b64 exec, s[20:21]                                   // 00000000BD60: BEFE0114
	global_atomic_add_f32 v6, v150, s[8:9] offset:8            // 00000000BD64: DD348008 00089606
	global_atomic_add_f32 v6, v154, s[8:9] offset:264          // 00000000BD6C: DD348108 00089A06
	s_mov_b64 exec, s[36:37]                                   // 00000000BD74: BEFE0124
	v_mov_b32_e32 v6, v61                                      // 00000000BD78: 7E0C033D
	s_mov_b64 s[60:61], 0                                      // 00000000BD7C: BEBC0180
	v_readlane_b32 s82, v3, 18                                 // 00000000BD80: D2890052 00012503
	s_and_b32 s82, s82, 0xffffff                               // 00000000BD88: 8652FF52 00FFFFFF
	s_cmp_lt_u32 s82, s66                                      // 00000000BD90: BF0A4252
	s_cselect_b32 s20, s36, s60                                // 00000000BD94: 85143C24
	v_readlane_b32 s82, v3, 19                                 // 00000000BD98: D2890052 00012703
	s_and_b32 s82, s82, 0xffffff                               // 00000000BDA0: 8652FF52 00FFFFFF
	s_cmp_lt_u32 s82, s66                                      // 00000000BDA8: BF0A4252
	s_cselect_b32 s21, s36, s60                                // 00000000BDAC: 85153C24
	s_mov_b64 exec, s[20:21]                                   // 00000000BDB0: BEFE0114
	global_atomic_add_f32 v6, v151, s[8:9] offset:8            // 00000000BDB4: DD348008 00089706
	global_atomic_add_f32 v6, v155, s[8:9] offset:264          // 00000000BDBC: DD348108 00089B06
	s_mov_b64 exec, s[36:37]                                   // 00000000BDC4: BEFE0124
	v_mov_b32_e32 v6, v62                                      // 00000000BDC8: 7E0C033E
	s_mov_b64 s[60:61], 0                                      // 00000000BDCC: BEBC0180
	v_readlane_b32 s82, v3, 20                                 // 00000000BDD0: D2890052 00012903
	s_and_b32 s82, s82, 0xffffff                               // 00000000BDD8: 8652FF52 00FFFFFF
	s_cmp_lt_u32 s82, s66                                      // 00000000BDE0: BF0A4252
	s_cselect_b32 s20, s36, s60                                // 00000000BDE4: 85143C24
	v_readlane_b32 s82, v3, 21                                 // 00000000BDE8: D2890052 00012B03
	s_and_b32 s82, s82, 0xffffff                               // 00000000BDF0: 8652FF52 00FFFFFF
	s_cmp_lt_u32 s82, s66                                      // 00000000BDF8: BF0A4252
	s_cselect_b32 s21, s36, s60                                // 00000000BDFC: 85153C24
	s_mov_b64 exec, s[20:21]                                   // 00000000BE00: BEFE0114
	global_atomic_add_f32 v6, v158, s[8:9] offset:8            // 00000000BE04: DD348008 00089E06
	global_atomic_add_f32 v6, v162, s[8:9] offset:264          // 00000000BE0C: DD348108 0008A206
	s_mov_b64 exec, s[36:37]                                   // 00000000BE14: BEFE0124
	v_mov_b32_e32 v6, v63                                      // 00000000BE18: 7E0C033F
	s_mov_b64 s[60:61], 0                                      // 00000000BE1C: BEBC0180
	v_readlane_b32 s82, v3, 22                                 // 00000000BE20: D2890052 00012D03
	s_and_b32 s82, s82, 0xffffff                               // 00000000BE28: 8652FF52 00FFFFFF
	s_cmp_lt_u32 s82, s66                                      // 00000000BE30: BF0A4252
	s_cselect_b32 s20, s36, s60                                // 00000000BE34: 85143C24
	v_readlane_b32 s82, v3, 23                                 // 00000000BE38: D2890052 00012F03
	s_and_b32 s82, s82, 0xffffff                               // 00000000BE40: 8652FF52 00FFFFFF
	s_cmp_lt_u32 s82, s66                                      // 00000000BE48: BF0A4252
	s_cselect_b32 s21, s36, s60                                // 00000000BE4C: 85153C24
	s_mov_b64 exec, s[20:21]                                   // 00000000BE50: BEFE0114
	global_atomic_add_f32 v6, v159, s[8:9] offset:8            // 00000000BE54: DD348008 00089F06
	global_atomic_add_f32 v6, v163, s[8:9] offset:264          // 00000000BE5C: DD348108 0008A306
	s_mov_b64 exec, s[36:37]                                   // 00000000BE64: BEFE0124
	s_branch label_251E                                        // 00000000BE68: BF820000

000000000000be6c <label_251E>:
	s_waitcnt vmcnt(0) expcnt(0) lgkmcnt(0)                    // 00000000BE6C: BF8C0000
	s_endpgm                                                   // 00000000BE70: BF810000
